;; amdgpu-corpus repo=ROCm/aiter kind=harvested arch=n/a opt=n/a

/root/src/amdgpu-assembly/repos/ROCm__aiter/hsa/gfx942/fmoe_2stages/fmoe_stage1_bf16_pertokenFp8_blockscale_g1u1_160x128_pf2.co:	file format elf64-amdgpu

Disassembly of section .text:

0000000000002a00 <_ZN5aiter56fmoe_stage1_bf16_pertokenFp8_blockscale_g1u1_160x128_pf2E>:
	s_and_b32 s1, s1, 0xffff                                   // 000000002A00: 8601FF01 0000FFFF
	s_load_dwordx2 s[8:9], s[0:1], 0x0                         // 000000002A08: C0060200 00000000
	s_load_dwordx2 s[20:21], s[0:1], 0x10                      // 000000002A10: C0060500 00000010
	s_load_dwordx2 s[24:25], s[0:1], 0x20                      // 000000002A18: C0060600 00000020
	s_load_dwordx2 s[48:49], s[0:1], 0x30                      // 000000002A20: C0060C00 00000030
	s_load_dwordx2 s[28:29], s[0:1], 0x40                      // 000000002A28: C0060700 00000040
	s_load_dwordx2 s[32:33], s[0:1], 0x50                      // 000000002A30: C0060800 00000050
	s_load_dwordx2 s[36:37], s[0:1], 0x60                      // 000000002A38: C0060900 00000060
	s_load_dwordx2 s[12:13], s[0:1], 0x70                      // 000000002A40: C0060300 00000070
	s_load_dwordx2 s[44:45], s[0:1], 0x80                      // 000000002A48: C0060B00 00000080
	s_mov_b32 s89, 0                                           // 000000002A50: BED90080
	s_load_dword s64, s[0:1], 0x90                             // 000000002A54: C0021000 00000090
	s_load_dword s65, s[0:1], 0xa0                             // 000000002A5C: C0021040 000000A0
	s_load_dword s66, s[0:1], 0xb0                             // 000000002A64: C0021080 000000B0
	s_load_dword s67, s[0:1], 0xc0                             // 000000002A6C: C00210C0 000000C0
	s_load_dword s68, s[0:1], 0xd0                             // 000000002A74: C0021100 000000D0
	s_load_dword s69, s[0:1], 0xe0                             // 000000002A7C: C0021140 000000E0
	s_load_dword s71, s[0:1], 0xf0                             // 000000002A84: C00211C0 000000F0
	s_load_dword s72, s[0:1], 0x100                            // 000000002A8C: C0021200 00000100
	s_load_dword s74, s[0:1], 0x110                            // 000000002A94: C0021280 00000110
	s_load_dword s76, s[0:1], 0x120                            // 000000002A9C: C0021300 00000120
	s_load_dword s56, s[0:1], 0x130                            // 000000002AA4: C0020E00 00000130
	s_load_dword s88, s[0:1], 0x140                            // 000000002AAC: C0021600 00000140
	s_load_dword s89, s[0:1], 0x150                            // 000000002AB4: C0021640 00000150
	v_lshrrev_b32_e32 v1, 10, v0                               // 000000002ABC: 2002008A
	v_lshrrev_b32_e32 v2, 10, v1                               // 000000002AC0: 2004028A
	v_and_b32_e32 v2, 0x3ff, v2                                // 000000002AC4: 260404FF 000003FF
	v_and_b32_e32 v1, 0x3ff, v1                                // 000000002ACC: 260202FF 000003FF
	v_and_b32_e32 v0, 0x3ff, v0                                // 000000002AD4: 260000FF 000003FF
	v_lshrrev_b32_e32 v3, 6, v0                                // 000000002ADC: 20060086
	v_and_b32_e32 v0, 63, v0                                   // 000000002AE0: 260000BF
	s_mov_b32 s2, s2                                           // 000000002AE4: BE820002
	s_mov_b32 s3, s3                                           // 000000002AE8: BE830003
	s_mov_b32 s4, s4                                           // 000000002AEC: BE840004
	v_readfirstlane_b32 s7, v3                                 // 000000002AF0: 7E0E0503
	s_waitcnt lgkmcnt(0)                                       // 000000002AF4: BF8CC07F
	s_and_b32 s49, s49, 0xffff                                 // 000000002AF8: 8631FF31 0000FFFF
	s_load_dword s48, s[48:49], 0x0                            // 000000002B00: C0020C18 00000000
	s_and_b32 s45, s45, 0xffff                                 // 000000002B08: 862DFF2D 0000FFFF
	s_and_b32 s9, s9, 0xffff                                   // 000000002B10: 8609FF09 0000FFFF
	s_mul_i32 s60, s66, s68                                    // 000000002B18: 923C4442
	s_mul_i32 s61, s66, 4                                      // 000000002B1C: 923D8442
	s_mov_b32 s22, s60                                         // 000000002B20: BE96003C
	s_mov_b32 s26, -16                                         // 000000002B24: BE9A00D0
	s_mov_b32 s30, s61                                         // 000000002B28: BE9E003D
	s_mov_b32 s14, 0x280                                       // 000000002B2C: BE8E00FF 00000280
	s_mov_b32 s38, -16                                         // 000000002B34: BEA600D0
	s_mov_b32 s10, -16                                         // 000000002B38: BE8A00D0
	s_lshr_b32 s60, s64, 7                                     // 000000002B3C: 8F3C8740
	s_mul_i32 s61, s60, 4                                      // 000000002B40: 923D843C
	s_lshr_b32 s60, s65, 7                                     // 000000002B44: 8F3C8741
	s_add_u32 s60, s60, 1                                      // 000000002B48: 803C813C
	s_mul_i32 s60, s60, s61                                    // 000000002B4C: 923C3D3C
	s_mov_b32 s34, s60                                         // 000000002B50: BEA2003C
	s_mov_b32 s23, 0x20000                                     // 000000002B54: BE9700FF 00020000
	s_mov_b32 s27, 0x20000                                     // 000000002B5C: BE9B00FF 00020000
	s_mov_b32 s31, 0x20000                                     // 000000002B64: BE9F00FF 00020000
	s_mov_b32 s35, 0x20000                                     // 000000002B6C: BEA300FF 00020000
	s_mov_b32 s15, 0x20000                                     // 000000002B74: BE8F00FF 00020000
	s_mov_b32 s39, 0x20000                                     // 000000002B7C: BEA700FF 00020000
	s_mov_b32 s11, 0x20000                                     // 000000002B84: BE8B00FF 00020000
	s_and_b32 s21, s21, 0xffff                                 // 000000002B8C: 8615FF15 0000FFFF
	s_and_b32 s25, s25, 0xffff                                 // 000000002B94: 8619FF19 0000FFFF
	s_and_b32 s29, s29, 0xffff                                 // 000000002B9C: 861DFF1D 0000FFFF
	s_and_b32 s33, s33, 0xffff                                 // 000000002BA4: 8621FF21 0000FFFF
	s_and_b32 s13, s13, 0xffff                                 // 000000002BAC: 860DFF0D 0000FFFF
	s_and_b32 s37, s37, 0xffff                                 // 000000002BB4: 8625FF25 0000FFFF
	s_or_b32 s21, s21, 0x40000                                 // 000000002BBC: 8715FF15 00040000
	s_or_b32 s25, s25, 0x40000                                 // 000000002BC4: 8719FF19 00040000
	s_or_b32 s29, s29, 0x40000                                 // 000000002BCC: 871DFF1D 00040000
	s_or_b32 s33, s33, 0x40000                                 // 000000002BD4: 8721FF21 00040000
	s_or_b32 s13, s13, 0x40000                                 // 000000002BDC: 870DFF0D 00040000
	s_or_b32 s37, s37, 0x40000                                 // 000000002BE4: 8725FF25 00040000
	v_accvgpr_write_b32 a191, 0                                // 000000002BEC: D3D940BF 18000080
	v_mov_b32_e32 v251, 0                                      // 000000002BF4: 7FF60280
	s_waitcnt lgkmcnt(0)                                       // 000000002BF8: BF8CC07F
	s_mul_i32 s60, s3, 0xa0                                    // 000000002BFC: 923CFF03 000000A0
	s_cmp_lt_i32 s60, s48                                      // 000000002C04: BF04303C
	s_cbranch_scc0 label_40FC                                  // 000000002C08: BF844076
	s_mov_b32 s80, 0                                           // 000000002C0C: BED00080
	s_lshr_b32 s81, s64, s88                                   // 000000002C10: 8F515840
	s_mul_i32 s60, s3, 4                                       // 000000002C14: 923C8403
	s_add_u32 s44, s60, s44                                    // 000000002C18: 802C2C3C
	s_addc_u32 s45, 0, s45                                     // 000000002C1C: 822D2D80
	s_load_dword s5, s[44:45], 0x0                             // 000000002C20: C0020156 00000000
	s_mul_i32 s60, s3, 0xa0                                    // 000000002C28: 923CFF03 000000A0
	s_mul_i32 s60, 4, s60                                      // 000000002C30: 923C3C84
	s_add_u32 s12, s60, s12                                    // 000000002C34: 800C0C3C
	s_addc_u32 s13, 0, s13                                     // 000000002C38: 820D0D80
	v_and_b32_e32 v4, 15, v0                                   // 000000002C3C: 2608008F
	v_lshlrev_b32_e32 v4, 2, v4                                // 000000002C40: 24080882
	buffer_load_dword v28, v4, s[12:15], 0 offen               // 000000002C44: E0501000 80031C04
	v_add_u32_e32 v4, 64, v4                                   // 000000002C4C: 680808C0
	buffer_load_dword v29, v4, s[12:15], 0 offen               // 000000002C50: E0501000 80031D04
	v_add_u32_e32 v4, 64, v4                                   // 000000002C58: 680808C0
	buffer_load_dword v30, v4, s[12:15], 0 offen               // 000000002C5C: E0501000 80031E04
	v_add_u32_e32 v4, 64, v4                                   // 000000002C64: 680808C0
	buffer_load_dword v31, v4, s[12:15], 0 offen               // 000000002C68: E0501000 80031F04
	v_add_u32_e32 v4, 64, v4                                   // 000000002C70: 680808C0
	buffer_load_dword v32, v4, s[12:15], 0 offen               // 000000002C74: E0501000 80032004
	v_add_u32_e32 v4, 64, v4                                   // 000000002C7C: 680808C0
	buffer_load_dword v33, v4, s[12:15], 0 offen               // 000000002C80: E0501000 80032104
	v_add_u32_e32 v4, 64, v4                                   // 000000002C88: 680808C0
	buffer_load_dword v34, v4, s[12:15], 0 offen               // 000000002C8C: E0501000 80032204
	v_add_u32_e32 v4, 64, v4                                   // 000000002C94: 680808C0
	buffer_load_dword v35, v4, s[12:15], 0 offen               // 000000002C98: E0501000 80032304
	v_add_u32_e32 v4, 64, v4                                   // 000000002CA0: 680808C0
	buffer_load_dword v36, v4, s[12:15], 0 offen               // 000000002CA4: E0501000 80032404
	v_add_u32_e32 v4, 64, v4                                   // 000000002CAC: 680808C0
	buffer_load_dword v37, v4, s[12:15], 0 offen               // 000000002CB0: E0501000 80032504
	v_add_u32_e32 v4, 64, v4                                   // 000000002CB8: 680808C0
	s_mul_i32 s60, 4, s7                                       // 000000002CBC: 923C0784
	v_lshlrev_b32_e32 v4, 4, v0                                // 000000002CC0: 24080084
	v_add_u32_e32 v4, s60, v4                                  // 000000002CC4: 6808083C
	buffer_load_dword v3, v4, s[12:15], 0 offen                // 000000002CC8: E0501000 80030304
	v_mov_b32_e32 v92, 0                                       // 000000002CD0: 7EB80280
	v_mov_b32_e32 v172, 0                                      // 000000002CD4: 7F580280
	v_mov_b32_e32 v93, 0                                       // 000000002CD8: 7EBA0280
	v_mov_b32_e32 v173, 0                                      // 000000002CDC: 7F5A0280
	v_mov_b32_e32 v94, 0                                       // 000000002CE0: 7EBC0280
	v_mov_b32_e32 v174, 0                                      // 000000002CE4: 7F5C0280
	v_mov_b32_e32 v95, 0                                       // 000000002CE8: 7EBE0280
	v_mov_b32_e32 v175, 0                                      // 000000002CEC: 7F5E0280
	v_mov_b32_e32 v96, 0                                       // 000000002CF0: 7EC00280
	v_mov_b32_e32 v176, 0                                      // 000000002CF4: 7F600280
	v_mov_b32_e32 v97, 0                                       // 000000002CF8: 7EC20280
	v_mov_b32_e32 v177, 0                                      // 000000002CFC: 7F620280
	v_mov_b32_e32 v98, 0                                       // 000000002D00: 7EC40280
	v_mov_b32_e32 v178, 0                                      // 000000002D04: 7F640280
	v_mov_b32_e32 v99, 0                                       // 000000002D08: 7EC60280
	v_mov_b32_e32 v179, 0                                      // 000000002D0C: 7F660280
	v_mov_b32_e32 v100, 0                                      // 000000002D10: 7EC80280
	v_mov_b32_e32 v180, 0                                      // 000000002D14: 7F680280
	v_mov_b32_e32 v101, 0                                      // 000000002D18: 7ECA0280
	v_mov_b32_e32 v181, 0                                      // 000000002D1C: 7F6A0280
	v_mov_b32_e32 v102, 0                                      // 000000002D20: 7ECC0280
	v_mov_b32_e32 v182, 0                                      // 000000002D24: 7F6C0280
	v_mov_b32_e32 v103, 0                                      // 000000002D28: 7ECE0280
	v_mov_b32_e32 v183, 0                                      // 000000002D2C: 7F6E0280
	v_mov_b32_e32 v104, 0                                      // 000000002D30: 7ED00280
	v_mov_b32_e32 v184, 0                                      // 000000002D34: 7F700280
	v_mov_b32_e32 v105, 0                                      // 000000002D38: 7ED20280
	v_mov_b32_e32 v185, 0                                      // 000000002D3C: 7F720280
	v_mov_b32_e32 v106, 0                                      // 000000002D40: 7ED40280
	v_mov_b32_e32 v186, 0                                      // 000000002D44: 7F740280
	v_mov_b32_e32 v107, 0                                      // 000000002D48: 7ED60280
	v_mov_b32_e32 v187, 0                                      // 000000002D4C: 7F760280
	v_mov_b32_e32 v108, 0                                      // 000000002D50: 7ED80280
	v_mov_b32_e32 v188, 0                                      // 000000002D54: 7F780280
	v_mov_b32_e32 v109, 0                                      // 000000002D58: 7EDA0280
	v_mov_b32_e32 v189, 0                                      // 000000002D5C: 7F7A0280
	v_mov_b32_e32 v110, 0                                      // 000000002D60: 7EDC0280
	v_mov_b32_e32 v190, 0                                      // 000000002D64: 7F7C0280
	v_mov_b32_e32 v111, 0                                      // 000000002D68: 7EDE0280
	v_mov_b32_e32 v191, 0                                      // 000000002D6C: 7F7E0280
	v_mov_b32_e32 v112, 0                                      // 000000002D70: 7EE00280
	v_mov_b32_e32 v192, 0                                      // 000000002D74: 7F800280
	v_mov_b32_e32 v113, 0                                      // 000000002D78: 7EE20280
	v_mov_b32_e32 v193, 0                                      // 000000002D7C: 7F820280
	v_mov_b32_e32 v114, 0                                      // 000000002D80: 7EE40280
	v_mov_b32_e32 v194, 0                                      // 000000002D84: 7F840280
	v_mov_b32_e32 v115, 0                                      // 000000002D88: 7EE60280
	v_mov_b32_e32 v195, 0                                      // 000000002D8C: 7F860280
	v_mov_b32_e32 v116, 0                                      // 000000002D90: 7EE80280
	v_mov_b32_e32 v196, 0                                      // 000000002D94: 7F880280
	v_mov_b32_e32 v117, 0                                      // 000000002D98: 7EEA0280
	v_mov_b32_e32 v197, 0                                      // 000000002D9C: 7F8A0280
	v_mov_b32_e32 v118, 0                                      // 000000002DA0: 7EEC0280
	v_mov_b32_e32 v198, 0                                      // 000000002DA4: 7F8C0280
	v_mov_b32_e32 v119, 0                                      // 000000002DA8: 7EEE0280
	v_mov_b32_e32 v199, 0                                      // 000000002DAC: 7F8E0280
	v_mov_b32_e32 v120, 0                                      // 000000002DB0: 7EF00280
	v_mov_b32_e32 v200, 0                                      // 000000002DB4: 7F900280
	v_mov_b32_e32 v121, 0                                      // 000000002DB8: 7EF20280
	v_mov_b32_e32 v201, 0                                      // 000000002DBC: 7F920280
	v_mov_b32_e32 v122, 0                                      // 000000002DC0: 7EF40280
	v_mov_b32_e32 v202, 0                                      // 000000002DC4: 7F940280
	v_mov_b32_e32 v123, 0                                      // 000000002DC8: 7EF60280
	v_mov_b32_e32 v203, 0                                      // 000000002DCC: 7F960280
	v_mov_b32_e32 v124, 0                                      // 000000002DD0: 7EF80280
	v_mov_b32_e32 v204, 0                                      // 000000002DD4: 7F980280
	v_mov_b32_e32 v125, 0                                      // 000000002DD8: 7EFA0280
	v_mov_b32_e32 v205, 0                                      // 000000002DDC: 7F9A0280
	v_mov_b32_e32 v126, 0                                      // 000000002DE0: 7EFC0280
	v_mov_b32_e32 v206, 0                                      // 000000002DE4: 7F9C0280
	v_mov_b32_e32 v127, 0                                      // 000000002DE8: 7EFE0280
	v_mov_b32_e32 v207, 0                                      // 000000002DEC: 7F9E0280
	v_mov_b32_e32 v128, 0                                      // 000000002DF0: 7F000280
	v_mov_b32_e32 v208, 0                                      // 000000002DF4: 7FA00280
	v_mov_b32_e32 v129, 0                                      // 000000002DF8: 7F020280
	v_mov_b32_e32 v209, 0                                      // 000000002DFC: 7FA20280
	v_mov_b32_e32 v130, 0                                      // 000000002E00: 7F040280
	v_mov_b32_e32 v210, 0                                      // 000000002E04: 7FA40280
	v_mov_b32_e32 v131, 0                                      // 000000002E08: 7F060280
	v_mov_b32_e32 v211, 0                                      // 000000002E0C: 7FA60280
	v_mov_b32_e32 v132, 0                                      // 000000002E10: 7F080280
	v_mov_b32_e32 v212, 0                                      // 000000002E14: 7FA80280
	v_mov_b32_e32 v133, 0                                      // 000000002E18: 7F0A0280
	v_mov_b32_e32 v213, 0                                      // 000000002E1C: 7FAA0280
	v_mov_b32_e32 v134, 0                                      // 000000002E20: 7F0C0280
	v_mov_b32_e32 v214, 0                                      // 000000002E24: 7FAC0280
	v_mov_b32_e32 v135, 0                                      // 000000002E28: 7F0E0280
	v_mov_b32_e32 v215, 0                                      // 000000002E2C: 7FAE0280
	v_mov_b32_e32 v136, 0                                      // 000000002E30: 7F100280
	v_mov_b32_e32 v216, 0                                      // 000000002E34: 7FB00280
	v_mov_b32_e32 v137, 0                                      // 000000002E38: 7F120280
	v_mov_b32_e32 v217, 0                                      // 000000002E3C: 7FB20280
	v_mov_b32_e32 v138, 0                                      // 000000002E40: 7F140280
	v_mov_b32_e32 v218, 0                                      // 000000002E44: 7FB40280
	v_mov_b32_e32 v139, 0                                      // 000000002E48: 7F160280
	v_mov_b32_e32 v219, 0                                      // 000000002E4C: 7FB60280
	v_mov_b32_e32 v140, 0                                      // 000000002E50: 7F180280
	v_mov_b32_e32 v220, 0                                      // 000000002E54: 7FB80280
	v_mov_b32_e32 v141, 0                                      // 000000002E58: 7F1A0280
	v_mov_b32_e32 v221, 0                                      // 000000002E5C: 7FBA0280
	v_mov_b32_e32 v142, 0                                      // 000000002E60: 7F1C0280
	v_mov_b32_e32 v222, 0                                      // 000000002E64: 7FBC0280
	v_mov_b32_e32 v143, 0                                      // 000000002E68: 7F1E0280
	v_mov_b32_e32 v223, 0                                      // 000000002E6C: 7FBE0280
	v_mov_b32_e32 v144, 0                                      // 000000002E70: 7F200280
	v_mov_b32_e32 v224, 0                                      // 000000002E74: 7FC00280
	v_mov_b32_e32 v145, 0                                      // 000000002E78: 7F220280
	v_mov_b32_e32 v225, 0                                      // 000000002E7C: 7FC20280
	v_mov_b32_e32 v146, 0                                      // 000000002E80: 7F240280
	v_mov_b32_e32 v226, 0                                      // 000000002E84: 7FC40280
	v_mov_b32_e32 v147, 0                                      // 000000002E88: 7F260280
	v_mov_b32_e32 v227, 0                                      // 000000002E8C: 7FC60280
	v_mov_b32_e32 v148, 0                                      // 000000002E90: 7F280280
	v_mov_b32_e32 v228, 0                                      // 000000002E94: 7FC80280
	v_mov_b32_e32 v149, 0                                      // 000000002E98: 7F2A0280
	v_mov_b32_e32 v229, 0                                      // 000000002E9C: 7FCA0280
	v_mov_b32_e32 v150, 0                                      // 000000002EA0: 7F2C0280
	v_mov_b32_e32 v230, 0                                      // 000000002EA4: 7FCC0280
	v_mov_b32_e32 v151, 0                                      // 000000002EA8: 7F2E0280
	v_mov_b32_e32 v231, 0                                      // 000000002EAC: 7FCE0280
	v_mov_b32_e32 v152, 0                                      // 000000002EB0: 7F300280
	v_mov_b32_e32 v232, 0                                      // 000000002EB4: 7FD00280
	v_mov_b32_e32 v153, 0                                      // 000000002EB8: 7F320280
	v_mov_b32_e32 v233, 0                                      // 000000002EBC: 7FD20280
	v_mov_b32_e32 v154, 0                                      // 000000002EC0: 7F340280
	v_mov_b32_e32 v234, 0                                      // 000000002EC4: 7FD40280
	v_mov_b32_e32 v155, 0                                      // 000000002EC8: 7F360280
	v_mov_b32_e32 v235, 0                                      // 000000002ECC: 7FD60280
	v_mov_b32_e32 v156, 0                                      // 000000002ED0: 7F380280
	v_mov_b32_e32 v236, 0                                      // 000000002ED4: 7FD80280
	v_mov_b32_e32 v157, 0                                      // 000000002ED8: 7F3A0280
	v_mov_b32_e32 v237, 0                                      // 000000002EDC: 7FDA0280
	v_mov_b32_e32 v158, 0                                      // 000000002EE0: 7F3C0280
	v_mov_b32_e32 v238, 0                                      // 000000002EE4: 7FDC0280
	v_mov_b32_e32 v159, 0                                      // 000000002EE8: 7F3E0280
	v_mov_b32_e32 v239, 0                                      // 000000002EEC: 7FDE0280
	v_mov_b32_e32 v160, 0                                      // 000000002EF0: 7F400280
	v_mov_b32_e32 v240, 0                                      // 000000002EF4: 7FE00280
	v_mov_b32_e32 v161, 0                                      // 000000002EF8: 7F420280
	v_mov_b32_e32 v241, 0                                      // 000000002EFC: 7FE20280
	v_mov_b32_e32 v162, 0                                      // 000000002F00: 7F440280
	v_mov_b32_e32 v242, 0                                      // 000000002F04: 7FE40280
	v_mov_b32_e32 v163, 0                                      // 000000002F08: 7F460280
	v_mov_b32_e32 v243, 0                                      // 000000002F0C: 7FE60280
	v_mov_b32_e32 v164, 0                                      // 000000002F10: 7F480280
	v_mov_b32_e32 v244, 0                                      // 000000002F14: 7FE80280
	v_mov_b32_e32 v165, 0                                      // 000000002F18: 7F4A0280
	v_mov_b32_e32 v245, 0                                      // 000000002F1C: 7FEA0280
	v_mov_b32_e32 v166, 0                                      // 000000002F20: 7F4C0280
	v_mov_b32_e32 v246, 0                                      // 000000002F24: 7FEC0280
	v_mov_b32_e32 v167, 0                                      // 000000002F28: 7F4E0280
	v_mov_b32_e32 v247, 0                                      // 000000002F2C: 7FEE0280
	v_mov_b32_e32 v168, 0                                      // 000000002F30: 7F500280
	v_mov_b32_e32 v248, 0                                      // 000000002F34: 7FF00280
	v_mov_b32_e32 v169, 0                                      // 000000002F38: 7F520280
	v_mov_b32_e32 v249, 0                                      // 000000002F3C: 7FF20280
	v_mov_b32_e32 v170, 0                                      // 000000002F40: 7F540280
	v_mov_b32_e32 v250, 0                                      // 000000002F44: 7FF40280
	v_mov_b32_e32 v171, 0                                      // 000000002F48: 7F560280
	v_mov_b32_e32 v251, 0                                      // 000000002F4C: 7FF60280
	s_mul_i32 s60, s2, 0x80                                    // 000000002F50: 923CFF02 00000080
	s_cmp_eq_u32 s88, 0                                        // 000000002F58: BF068058
	s_cselect_b32 s61, 1, 4                                    // 000000002F5C: 853D8481
	s_mul_i32 s60, s60, s61                                    // 000000002F60: 923C3D3C
	s_mov_b32 s90, s8                                          // 000000002F64: BEDA0008
	s_mov_b32 s91, s9                                          // 000000002F68: BEDB0009
	s_add_u32 s8, s60, s8                                      // 000000002F6C: 8008083C
	s_addc_u32 s9, 0, s9                                       // 000000002F70: 82090980
	v_lshrrev_b32_e32 v4, 4, v0                                // 000000002F74: 20080084
	v_mul_lo_u32 v20, 34, v4                                   // 000000002F78: D2850014 000208A2
	v_and_b32_e32 v4, 15, v0                                   // 000000002F80: 2608008F
	v_mul_lo_u32 v5, 2, v4                                     // 000000002F84: D2850005 00020882
	v_add_u32_e32 v20, v5, v20                                 // 000000002F8C: 68282905
	s_mul_i32 s60, s7, 0x88                                    // 000000002F90: 923CFF07 00000088
	v_add_u32_e32 v20, s60, v20                                // 000000002F98: 6828283C
	v_lshlrev_b32_e32 v20, 2, v20                              // 000000002F9C: 24282882
	v_and_b32_e32 v4, 31, v0                                   // 000000002FA0: 2608009F
	v_lshrrev_b32_e32 v4, 1, v4                                // 000000002FA4: 20080881
	v_mul_lo_u32 v21, 34, v4                                   // 000000002FA8: D2850015 000208A2
	v_lshrrev_b32_e32 v4, 5, v0                                // 000000002FB0: 20080085
	v_mul_lo_u32 v4, 8, v4                                     // 000000002FB4: D2850004 00020888
	v_add_u32_e32 v21, v21, v4                                 // 000000002FBC: 682A0915
	v_and_b32_e32 v5, 1, v0                                    // 000000002FC0: 260A0081
	v_add_u32_e32 v21, v5, v21                                 // 000000002FC4: 682A2B05
	s_mul_i32 s60, s7, 2                                       // 000000002FC8: 923C8207
	v_add_u32_e32 v21, s60, v21                                // 000000002FCC: 682A2A3C
	v_lshlrev_b32_e32 v21, 2, v21                              // 000000002FD0: 242A2A82
	s_mul_i32 s60, s7, 0x1420                                  // 000000002FD4: 923CFF07 00001420
	s_add_u32 s48, 0, s60                                      // 000000002FDC: 80303C80
	s_add_u32 s49, 0x5080, s48                                 // 000000002FE0: 803130FF 00005080
	v_lshrrev_b32_e32 v4, 4, v0                                // 000000002FE8: 20080084
	v_lshlrev_b32_e32 v5, 2, v4                                // 000000002FEC: 240A0882
	v_and_b32_e32 v4, 15, v0                                   // 000000002FF0: 2608008F
	v_lshrrev_b32_e32 v6, 2, v4                                // 000000002FF4: 200C0882
	v_lshlrev_b32_e32 v6, 5, v6                                // 000000002FF8: 240C0C85
	v_add_u32_e32 v5, v6, v5                                   // 000000002FFC: 680A0B06
	v_and_b32_e32 v4, 3, v0                                    // 000000003000: 26080083
	v_mul_u32_u24_e32 v6, 0x508, v4                            // 000000003004: 100C08FF 00000508
	v_add_u32_e32 v5, v6, v5                                   // 00000000300C: 680A0B06
	v_lshlrev_b32_e32 v2, 2, v5                                // 000000003010: 24040A82
	s_waitcnt lgkmcnt(0)                                       // 000000003014: BF8CC07F
	s_mul_i32 s60, s2, 0x80                                    // 000000003018: 923CFF02 00000080
	s_mul_i32 s60, s60, s69                                    // 000000003020: 923C453C
	s_mul_i32 s61, s5, s72                                     // 000000003024: 923D4805
	s_add_u32 s60, s61, s60                                    // 000000003028: 803C3C3D
	s_add_u32 s24, s60, s24                                    // 00000000302C: 8018183C
	s_addc_u32 s25, 0, s25                                     // 000000003030: 82191980
	s_lshr_b32 s60, s64, s88                                   // 000000003034: 8F3C5840
	s_mul_i32 s60, s4, s60                                     // 000000003038: 923C3C04
	s_lshr_b32 s60, s60, 7                                     // 00000000303C: 8F3C873C
	s_mul_i32 s60, s60, 0x800                                  // 000000003040: 923CFF3C 00000800
	s_add_u32 s24, s60, s24                                    // 000000003048: 8018183C
	s_addc_u32 s25, 0, s25                                     // 00000000304C: 82191980
	s_lshr_b32 s60, s69, s88                                   // 000000003050: 8F3C5845
	s_mul_i32 s60, s4, s60                                     // 000000003054: 923C3C04
	s_add_u32 s20, s60, s20                                    // 000000003058: 8014143C
	s_addc_u32 s21, 0, s21                                     // 00000000305C: 82151580
	s_mul_i32 s60, s7, 16                                      // 000000003060: 923C9007
	s_mul_i32 s60, s60, s69                                    // 000000003064: 923C453C
	v_lshlrev_b32_e32 v88, 4, v0                               // 000000003068: 24B00084
	v_add_u32_e32 v88, s60, v88                                // 00000000306C: 68B0B03C
	s_mul_i32 s60, 64, s69                                     // 000000003070: 923C45C0
	v_add_u32_e32 v89, s60, v88                                // 000000003074: 68B2B03C
	s_mov_b32 s84, s24                                         // 000000003078: BED40018
	s_mov_b32 s85, s25                                         // 00000000307C: BED50019
	s_mov_b32 s86, s26                                         // 000000003080: BED6001A
	s_mov_b32 s87, s27                                         // 000000003084: BED7001B
	s_mul_i32 s60, s69, s65                                    // 000000003088: 923C4145
	s_add_u32 s84, s60, s84                                    // 00000000308C: 8054543C
	s_addc_u32 s85, 0, s85                                     // 000000003090: 82555580
	s_lshr_b32 s60, s64, 7                                     // 000000003094: 8F3C8740
	s_mul_i32 s61, s60, 4                                      // 000000003098: 923D843C
	v_and_b32_e32 v22, 15, v0                                  // 00000000309C: 262C008F
	v_mul_lo_u32 v22, v22, s61                                 // 0000000030A0: D2850016 00007B16
	s_lshr_b32 s60, s65, 7                                     // 0000000030A8: 8F3C8741
	s_mul_i32 s60, s60, s61                                    // 0000000030AC: 923C3D3C
	v_add_u32_e64 v23, v22, s60                                // 0000000030B0: D1340017 00007916
	s_mul_i32 s60, s2, 1                                       // 0000000030B8: 923C8102
	s_mul_i32 s60, s60, s61                                    // 0000000030BC: 923C3D3C
	s_mul_i32 s61, s5, s74                                     // 0000000030C0: 923D4A05
	s_add_u32 s61, s61, s60                                    // 0000000030C4: 803D3C3D
	s_add_u32 s32, s61, s32                                    // 0000000030C8: 8020203D
	s_addc_u32 s33, 0, s33                                     // 0000000030CC: 82212180
	s_lshr_b32 s60, s64, 7                                     // 0000000030D0: 8F3C8740
	s_lshr_b32 s60, s60, s88                                   // 0000000030D4: 8F3C583C
	s_mul_i32 s60, s4, s60                                     // 0000000030D8: 923C3C04
	s_mul_i32 s61, s60, 4                                      // 0000000030DC: 923D843C
	s_add_u32 s32, s61, s32                                    // 0000000030E0: 8020203D
	s_addc_u32 s33, 0, s33                                     // 0000000030E4: 82212180
	s_lshl_b32 s62, s66, 2                                     // 0000000030E8: 8E3E8242
	s_mul_i32 s62, s60, s62                                    // 0000000030EC: 923E3E3C
	s_add_u32 s28, s62, s28                                    // 0000000030F0: 801C1C3E
	s_addc_u32 s29, 0, s29                                     // 0000000030F4: 821D1D80
	s_mov_b32 s4, 4                                            // 0000000030F8: BE840084
	s_mov_b32 s57, 0x80                                        // 0000000030FC: BEB900FF 00000080
	s_mov_b32 s58, 0x800                                       // 000000003104: BEBA00FF 00000800
	s_mov_b32 s83, s58                                         // 00000000310C: BED3003A
	s_mov_b32 s52, 0x7060302                                   // 000000003110: BEB400FF 07060302
	s_mov_b32 s53, 0x400                                       // 000000003118: BEB500FF 00000400
	s_mov_b32 s54, 0x40100                                     // 000000003120: BEB600FF 00040100
	s_mov_b32 s55, 0x4020100                                   // 000000003128: BEB700FF 04020100
	s_mov_b32 s6, 0x3fb8aa3b                                   // 000000003130: BE8600FF 3FB8AA3B
	s_mov_b32 s78, 0xbd92220c                                  // 000000003138: BECE00FF BD92220C
	s_mov_b32 s79, 0xbd92220c                                  // 000000003140: BECF00FF BD92220C
	s_mov_b32 m0, s48                                          // 000000003148: BEFC0030
	v_mov_b32_e32 v1, 0xbfcc4231                               // 00000000314C: 7E0202FF BFCC4231
	v_mov_b32_e32 v17, 0xffff0000                              // 000000003154: 7E2202FF FFFF0000
	v_mov_b32_e32 v18, 0x7fff0000                              // 00000000315C: 7E2402FF 7FFF0000
	v_mov_b32_e32 v19, 0x7fff                                  // 000000003164: 7E2602FF 00007FFF
	s_waitcnt vmcnt(0) expcnt(0) lgkmcnt(0)                    // 00000000316C: BF8C0000
	v_lshrrev_b32_e32 v4, 5, v0                                // 000000003170: 20080085
	v_xor_b32_e32 v5, 1, v4                                    // 000000003174: 2A0A0881
	v_readlane_b32 s82, v3, 0                                  // 000000003178: D2890052 00010103
	s_and_b32 s82, s82, 0xffffff                               // 000000003180: 8652FF52 00FFFFFF
	v_mul_lo_u32 v6, v5, s82                                   // 000000003188: D2850006 0000A505
	v_readlane_b32 s82, v3, 1                                  // 000000003190: D2890052 00010303
	s_and_b32 s82, s82, 0xffffff                               // 000000003198: 8652FF52 00FFFFFF
	v_mul_lo_u32 v7, v4, s82                                   // 0000000031A0: D2850007 0000A504
	v_add_u32_e32 v68, v6, v7                                  // 0000000031A8: 68880F06
	v_mul_lo_u32 v68, v68, s68                                 // 0000000031AC: D2850044 00008944
	v_readlane_b32 s82, v3, 2                                  // 0000000031B4: D2890052 00010503
	s_and_b32 s82, s82, 0xffffff                               // 0000000031BC: 8652FF52 00FFFFFF
	v_mul_lo_u32 v6, v5, s82                                   // 0000000031C4: D2850006 0000A505
	v_readlane_b32 s82, v3, 3                                  // 0000000031CC: D2890052 00010703
	s_and_b32 s82, s82, 0xffffff                               // 0000000031D4: 8652FF52 00FFFFFF
	v_mul_lo_u32 v7, v4, s82                                   // 0000000031DC: D2850007 0000A504
	v_add_u32_e32 v69, v6, v7                                  // 0000000031E4: 688A0F06
	v_mul_lo_u32 v69, v69, s68                                 // 0000000031E8: D2850045 00008945
	v_readlane_b32 s82, v3, 4                                  // 0000000031F0: D2890052 00010903
	s_and_b32 s82, s82, 0xffffff                               // 0000000031F8: 8652FF52 00FFFFFF
	v_mul_lo_u32 v6, v5, s82                                   // 000000003200: D2850006 0000A505
	v_readlane_b32 s82, v3, 5                                  // 000000003208: D2890052 00010B03
	s_and_b32 s82, s82, 0xffffff                               // 000000003210: 8652FF52 00FFFFFF
	v_mul_lo_u32 v7, v4, s82                                   // 000000003218: D2850007 0000A504
	v_add_u32_e32 v70, v6, v7                                  // 000000003220: 688C0F06
	v_mul_lo_u32 v70, v70, s68                                 // 000000003224: D2850046 00008946
	v_readlane_b32 s82, v3, 6                                  // 00000000322C: D2890052 00010D03
	s_and_b32 s82, s82, 0xffffff                               // 000000003234: 8652FF52 00FFFFFF
	v_mul_lo_u32 v6, v5, s82                                   // 00000000323C: D2850006 0000A505
	v_readlane_b32 s82, v3, 7                                  // 000000003244: D2890052 00010F03
	s_and_b32 s82, s82, 0xffffff                               // 00000000324C: 8652FF52 00FFFFFF
	v_mul_lo_u32 v7, v4, s82                                   // 000000003254: D2850007 0000A504
	v_add_u32_e32 v71, v6, v7                                  // 00000000325C: 688E0F06
	v_mul_lo_u32 v71, v71, s68                                 // 000000003260: D2850047 00008947
	v_readlane_b32 s82, v3, 8                                  // 000000003268: D2890052 00011103
	s_and_b32 s82, s82, 0xffffff                               // 000000003270: 8652FF52 00FFFFFF
	v_mul_lo_u32 v6, v5, s82                                   // 000000003278: D2850006 0000A505
	v_readlane_b32 s82, v3, 9                                  // 000000003280: D2890052 00011303
	s_and_b32 s82, s82, 0xffffff                               // 000000003288: 8652FF52 00FFFFFF
	v_mul_lo_u32 v7, v4, s82                                   // 000000003290: D2850007 0000A504
	v_add_u32_e32 v72, v6, v7                                  // 000000003298: 68900F06
	v_mul_lo_u32 v72, v72, s68                                 // 00000000329C: D2850048 00008948
	v_readlane_b32 s82, v3, 10                                 // 0000000032A4: D2890052 00011503
	s_and_b32 s82, s82, 0xffffff                               // 0000000032AC: 8652FF52 00FFFFFF
	v_mul_lo_u32 v6, v5, s82                                   // 0000000032B4: D2850006 0000A505
	v_readlane_b32 s82, v3, 11                                 // 0000000032BC: D2890052 00011703
	s_and_b32 s82, s82, 0xffffff                               // 0000000032C4: 8652FF52 00FFFFFF
	v_mul_lo_u32 v7, v4, s82                                   // 0000000032CC: D2850007 0000A504
	v_add_u32_e32 v73, v6, v7                                  // 0000000032D4: 68920F06
	v_mul_lo_u32 v73, v73, s68                                 // 0000000032D8: D2850049 00008949
	v_readlane_b32 s82, v3, 12                                 // 0000000032E0: D2890052 00011903
	s_and_b32 s82, s82, 0xffffff                               // 0000000032E8: 8652FF52 00FFFFFF
	v_mul_lo_u32 v6, v5, s82                                   // 0000000032F0: D2850006 0000A505
	v_readlane_b32 s82, v3, 13                                 // 0000000032F8: D2890052 00011B03
	s_and_b32 s82, s82, 0xffffff                               // 000000003300: 8652FF52 00FFFFFF
	v_mul_lo_u32 v7, v4, s82                                   // 000000003308: D2850007 0000A504
	v_add_u32_e32 v74, v6, v7                                  // 000000003310: 68940F06
	v_mul_lo_u32 v74, v74, s68                                 // 000000003314: D285004A 0000894A
	v_readlane_b32 s82, v3, 14                                 // 00000000331C: D2890052 00011D03
	s_and_b32 s82, s82, 0xffffff                               // 000000003324: 8652FF52 00FFFFFF
	v_mul_lo_u32 v6, v5, s82                                   // 00000000332C: D2850006 0000A505
	v_readlane_b32 s82, v3, 15                                 // 000000003334: D2890052 00011F03
	s_and_b32 s82, s82, 0xffffff                               // 00000000333C: 8652FF52 00FFFFFF
	v_mul_lo_u32 v7, v4, s82                                   // 000000003344: D2850007 0000A504
	v_add_u32_e32 v75, v6, v7                                  // 00000000334C: 68960F06
	v_mul_lo_u32 v75, v75, s68                                 // 000000003350: D285004B 0000894B
	v_readlane_b32 s82, v3, 16                                 // 000000003358: D2890052 00012103
	s_and_b32 s82, s82, 0xffffff                               // 000000003360: 8652FF52 00FFFFFF
	v_mul_lo_u32 v6, v5, s82                                   // 000000003368: D2850006 0000A505
	v_readlane_b32 s82, v3, 17                                 // 000000003370: D2890052 00012303
	s_and_b32 s82, s82, 0xffffff                               // 000000003378: 8652FF52 00FFFFFF
	v_mul_lo_u32 v7, v4, s82                                   // 000000003380: D2850007 0000A504
	v_add_u32_e32 v76, v6, v7                                  // 000000003388: 68980F06
	v_mul_lo_u32 v76, v76, s68                                 // 00000000338C: D285004C 0000894C
	v_readlane_b32 s82, v3, 18                                 // 000000003394: D2890052 00012503
	s_and_b32 s82, s82, 0xffffff                               // 00000000339C: 8652FF52 00FFFFFF
	v_mul_lo_u32 v6, v5, s82                                   // 0000000033A4: D2850006 0000A505
	v_readlane_b32 s82, v3, 19                                 // 0000000033AC: D2890052 00012703
	s_and_b32 s82, s82, 0xffffff                               // 0000000033B4: 8652FF52 00FFFFFF
	v_mul_lo_u32 v7, v4, s82                                   // 0000000033BC: D2850007 0000A504
	v_add_u32_e32 v77, v6, v7                                  // 0000000033C4: 689A0F06
	v_mul_lo_u32 v77, v77, s68                                 // 0000000033C8: D285004D 0000894D
	v_readlane_b32 s82, v3, 20                                 // 0000000033D0: D2890052 00012903
	s_and_b32 s82, s82, 0xffffff                               // 0000000033D8: 8652FF52 00FFFFFF
	v_mul_lo_u32 v6, v5, s82                                   // 0000000033E0: D2850006 0000A505
	v_readlane_b32 s82, v3, 21                                 // 0000000033E8: D2890052 00012B03
	s_and_b32 s82, s82, 0xffffff                               // 0000000033F0: 8652FF52 00FFFFFF
	v_mul_lo_u32 v7, v4, s82                                   // 0000000033F8: D2850007 0000A504
	v_add_u32_e32 v78, v6, v7                                  // 000000003400: 689C0F06
	v_mul_lo_u32 v78, v78, s68                                 // 000000003404: D285004E 0000894E
	v_readlane_b32 s82, v3, 22                                 // 00000000340C: D2890052 00012D03
	s_and_b32 s82, s82, 0xffffff                               // 000000003414: 8652FF52 00FFFFFF
	v_mul_lo_u32 v6, v5, s82                                   // 00000000341C: D2850006 0000A505
	v_readlane_b32 s82, v3, 23                                 // 000000003424: D2890052 00012F03
	s_and_b32 s82, s82, 0xffffff                               // 00000000342C: 8652FF52 00FFFFFF
	v_mul_lo_u32 v7, v4, s82                                   // 000000003434: D2850007 0000A504
	v_add_u32_e32 v79, v6, v7                                  // 00000000343C: 689E0F06
	v_mul_lo_u32 v79, v79, s68                                 // 000000003440: D285004F 0000894F
	v_readlane_b32 s82, v3, 24                                 // 000000003448: D2890052 00013103
	s_and_b32 s82, s82, 0xffffff                               // 000000003450: 8652FF52 00FFFFFF
	v_mul_lo_u32 v6, v5, s82                                   // 000000003458: D2850006 0000A505
	v_readlane_b32 s82, v3, 25                                 // 000000003460: D2890052 00013303
	s_and_b32 s82, s82, 0xffffff                               // 000000003468: 8652FF52 00FFFFFF
	v_mul_lo_u32 v7, v4, s82                                   // 000000003470: D2850007 0000A504
	v_add_u32_e32 v80, v6, v7                                  // 000000003478: 68A00F06
	v_mul_lo_u32 v80, v80, s68                                 // 00000000347C: D2850050 00008950
	v_readlane_b32 s82, v3, 26                                 // 000000003484: D2890052 00013503
	s_and_b32 s82, s82, 0xffffff                               // 00000000348C: 8652FF52 00FFFFFF
	v_mul_lo_u32 v6, v5, s82                                   // 000000003494: D2850006 0000A505
	v_readlane_b32 s82, v3, 27                                 // 00000000349C: D2890052 00013703
	s_and_b32 s82, s82, 0xffffff                               // 0000000034A4: 8652FF52 00FFFFFF
	v_mul_lo_u32 v7, v4, s82                                   // 0000000034AC: D2850007 0000A504
	v_add_u32_e32 v81, v6, v7                                  // 0000000034B4: 68A20F06
	v_mul_lo_u32 v81, v81, s68                                 // 0000000034B8: D2850051 00008951
	v_readlane_b32 s82, v3, 28                                 // 0000000034C0: D2890052 00013903
	s_and_b32 s82, s82, 0xffffff                               // 0000000034C8: 8652FF52 00FFFFFF
	v_mul_lo_u32 v6, v5, s82                                   // 0000000034D0: D2850006 0000A505
	v_readlane_b32 s82, v3, 29                                 // 0000000034D8: D2890052 00013B03
	s_and_b32 s82, s82, 0xffffff                               // 0000000034E0: 8652FF52 00FFFFFF
	v_mul_lo_u32 v7, v4, s82                                   // 0000000034E8: D2850007 0000A504
	v_add_u32_e32 v82, v6, v7                                  // 0000000034F0: 68A40F06
	v_mul_lo_u32 v82, v82, s68                                 // 0000000034F4: D2850052 00008952
	v_readlane_b32 s82, v3, 30                                 // 0000000034FC: D2890052 00013D03
	s_and_b32 s82, s82, 0xffffff                               // 000000003504: 8652FF52 00FFFFFF
	v_mul_lo_u32 v6, v5, s82                                   // 00000000350C: D2850006 0000A505
	v_readlane_b32 s82, v3, 31                                 // 000000003514: D2890052 00013F03
	s_and_b32 s82, s82, 0xffffff                               // 00000000351C: 8652FF52 00FFFFFF
	v_mul_lo_u32 v7, v4, s82                                   // 000000003524: D2850007 0000A504
	v_add_u32_e32 v83, v6, v7                                  // 00000000352C: 68A60F06
	v_mul_lo_u32 v83, v83, s68                                 // 000000003530: D2850053 00008953
	v_readlane_b32 s82, v3, 32                                 // 000000003538: D2890052 00014103
	s_and_b32 s82, s82, 0xffffff                               // 000000003540: 8652FF52 00FFFFFF
	v_mul_lo_u32 v6, v5, s82                                   // 000000003548: D2850006 0000A505
	v_readlane_b32 s82, v3, 33                                 // 000000003550: D2890052 00014303
	s_and_b32 s82, s82, 0xffffff                               // 000000003558: 8652FF52 00FFFFFF
	v_mul_lo_u32 v7, v4, s82                                   // 000000003560: D2850007 0000A504
	v_add_u32_e32 v84, v6, v7                                  // 000000003568: 68A80F06
	v_mul_lo_u32 v84, v84, s68                                 // 00000000356C: D2850054 00008954
	v_readlane_b32 s82, v3, 34                                 // 000000003574: D2890052 00014503
	s_and_b32 s82, s82, 0xffffff                               // 00000000357C: 8652FF52 00FFFFFF
	v_mul_lo_u32 v6, v5, s82                                   // 000000003584: D2850006 0000A505
	v_readlane_b32 s82, v3, 35                                 // 00000000358C: D2890052 00014703
	s_and_b32 s82, s82, 0xffffff                               // 000000003594: 8652FF52 00FFFFFF
	v_mul_lo_u32 v7, v4, s82                                   // 00000000359C: D2850007 0000A504
	v_add_u32_e32 v85, v6, v7                                  // 0000000035A4: 68AA0F06
	v_mul_lo_u32 v85, v85, s68                                 // 0000000035A8: D2850055 00008955
	v_readlane_b32 s82, v3, 36                                 // 0000000035B0: D2890052 00014903
	s_and_b32 s82, s82, 0xffffff                               // 0000000035B8: 8652FF52 00FFFFFF
	v_mul_lo_u32 v6, v5, s82                                   // 0000000035C0: D2850006 0000A505
	v_readlane_b32 s82, v3, 37                                 // 0000000035C8: D2890052 00014B03
	s_and_b32 s82, s82, 0xffffff                               // 0000000035D0: 8652FF52 00FFFFFF
	v_mul_lo_u32 v7, v4, s82                                   // 0000000035D8: D2850007 0000A504
	v_add_u32_e32 v86, v6, v7                                  // 0000000035E0: 68AC0F06
	v_mul_lo_u32 v86, v86, s68                                 // 0000000035E4: D2850056 00008956
	v_readlane_b32 s82, v3, 38                                 // 0000000035EC: D2890052 00014D03
	s_and_b32 s82, s82, 0xffffff                               // 0000000035F4: 8652FF52 00FFFFFF
	v_mul_lo_u32 v6, v5, s82                                   // 0000000035FC: D2850006 0000A505
	v_readlane_b32 s82, v3, 39                                 // 000000003604: D2890052 00014F03
	s_and_b32 s82, s82, 0xffffff                               // 00000000360C: 8652FF52 00FFFFFF
	v_mul_lo_u32 v7, v4, s82                                   // 000000003614: D2850007 0000A504
	v_add_u32_e32 v87, v6, v7                                  // 00000000361C: 68AE0F06
	v_mul_lo_u32 v87, v87, s68                                 // 000000003620: D2850057 00008957
	v_and_b32_e32 v4, 31, v0                                   // 000000003628: 2608009F
	v_lshlrev_b32_e32 v4, 2, v4                                // 00000000362C: 24080882
	v_add_u32_e32 v68, v68, v4                                 // 000000003630: 68880944
	v_add_u32_e32 v69, v69, v4                                 // 000000003634: 688A0945
	v_add_u32_e32 v70, v70, v4                                 // 000000003638: 688C0946
	v_add_u32_e32 v71, v71, v4                                 // 00000000363C: 688E0947
	v_add_u32_e32 v72, v72, v4                                 // 000000003640: 68900948
	v_add_u32_e32 v73, v73, v4                                 // 000000003644: 68920949
	v_add_u32_e32 v74, v74, v4                                 // 000000003648: 6894094A
	v_add_u32_e32 v75, v75, v4                                 // 00000000364C: 6896094B
	v_add_u32_e32 v76, v76, v4                                 // 000000003650: 6898094C
	v_add_u32_e32 v77, v77, v4                                 // 000000003654: 689A094D
	v_add_u32_e32 v78, v78, v4                                 // 000000003658: 689C094E
	v_add_u32_e32 v79, v79, v4                                 // 00000000365C: 689E094F
	v_add_u32_e32 v80, v80, v4                                 // 000000003660: 68A00950
	v_add_u32_e32 v81, v81, v4                                 // 000000003664: 68A20951
	v_add_u32_e32 v82, v82, v4                                 // 000000003668: 68A40952
	v_add_u32_e32 v83, v83, v4                                 // 00000000366C: 68A60953
	v_add_u32_e32 v84, v84, v4                                 // 000000003670: 68A80954
	v_add_u32_e32 v85, v85, v4                                 // 000000003674: 68AA0955
	v_add_u32_e32 v86, v86, v4                                 // 000000003678: 68AC0956
	v_add_u32_e32 v87, v87, v4                                 // 00000000367C: 68AE0957
	v_and_b32_e32 v28, 0xffffff, v28                           // 000000003680: 263838FF 00FFFFFF
	v_lshlrev_b32_e32 v28, 2, v28                              // 000000003688: 24383882
	v_and_b32_e32 v29, 0xffffff, v29                           // 00000000368C: 263A3AFF 00FFFFFF
	v_lshlrev_b32_e32 v29, 2, v29                              // 000000003694: 243A3A82
	v_and_b32_e32 v30, 0xffffff, v30                           // 000000003698: 263C3CFF 00FFFFFF
	v_lshlrev_b32_e32 v30, 2, v30                              // 0000000036A0: 243C3C82
	v_and_b32_e32 v31, 0xffffff, v31                           // 0000000036A4: 263E3EFF 00FFFFFF
	v_lshlrev_b32_e32 v31, 2, v31                              // 0000000036AC: 243E3E82
	v_and_b32_e32 v32, 0xffffff, v32                           // 0000000036B0: 264040FF 00FFFFFF
	v_lshlrev_b32_e32 v32, 2, v32                              // 0000000036B8: 24404082
	v_and_b32_e32 v33, 0xffffff, v33                           // 0000000036BC: 264242FF 00FFFFFF
	v_lshlrev_b32_e32 v33, 2, v33                              // 0000000036C4: 24424282
	v_and_b32_e32 v34, 0xffffff, v34                           // 0000000036C8: 264444FF 00FFFFFF
	v_lshlrev_b32_e32 v34, 2, v34                              // 0000000036D0: 24444482
	v_and_b32_e32 v35, 0xffffff, v35                           // 0000000036D4: 264646FF 00FFFFFF
	v_lshlrev_b32_e32 v35, 2, v35                              // 0000000036DC: 24464682
	v_and_b32_e32 v36, 0xffffff, v36                           // 0000000036E0: 264848FF 00FFFFFF
	v_lshlrev_b32_e32 v36, 2, v36                              // 0000000036E8: 24484882
	v_and_b32_e32 v37, 0xffffff, v37                           // 0000000036EC: 264A4AFF 00FFFFFF
	v_lshlrev_b32_e32 v37, 2, v37                              // 0000000036F4: 244A4A82
	s_lshl_b32 s3, s66, 2                                      // 0000000036F8: 8E038242
	buffer_load_dword v68, s[20:23], 0 offen lds               // 0000000036FC: E0511000 80050044
	s_add_u32 m0, 0x100, s48                                   // 000000003704: 807C30FF 00000100
	buffer_load_dword v69, s[20:23], 0 offen lds               // 00000000370C: E0511000 80050045
	s_add_u32 m0, 0x200, s48                                   // 000000003714: 807C30FF 00000200
	buffer_load_dword v70, s[20:23], 0 offen lds               // 00000000371C: E0511000 80050046
	s_add_u32 m0, 0x300, s48                                   // 000000003724: 807C30FF 00000300
	buffer_load_dword v71, s[20:23], 0 offen lds               // 00000000372C: E0511000 80050047
	s_add_u32 m0, 0x400, s48                                   // 000000003734: 807C30FF 00000400
	buffer_load_dword v72, s[20:23], 0 offen lds               // 00000000373C: E0511000 80050048
	s_add_u32 m0, 0x500, s48                                   // 000000003744: 807C30FF 00000500
	buffer_load_dword v73, s[20:23], 0 offen lds               // 00000000374C: E0511000 80050049
	s_add_u32 m0, 0x600, s48                                   // 000000003754: 807C30FF 00000600
	buffer_load_dword v74, s[20:23], 0 offen lds               // 00000000375C: E0511000 8005004A
	s_add_u32 m0, 0x700, s48                                   // 000000003764: 807C30FF 00000700
	buffer_load_dword v75, s[20:23], 0 offen lds               // 00000000376C: E0511000 8005004B
	s_add_u32 m0, 0x800, s48                                   // 000000003774: 807C30FF 00000800
	buffer_load_dword v76, s[20:23], 0 offen lds               // 00000000377C: E0511000 8005004C
	s_add_u32 m0, 0x900, s48                                   // 000000003784: 807C30FF 00000900
	buffer_load_dword v77, s[20:23], 0 offen lds               // 00000000378C: E0511000 8005004D
	s_add_u32 m0, 0xa00, s48                                   // 000000003794: 807C30FF 00000A00
	buffer_load_dword v78, s[20:23], 0 offen lds               // 00000000379C: E0511000 8005004E
	s_add_u32 m0, 0xb00, s48                                   // 0000000037A4: 807C30FF 00000B00
	buffer_load_dword v79, s[20:23], 0 offen lds               // 0000000037AC: E0511000 8005004F
	s_add_u32 m0, 0xc00, s48                                   // 0000000037B4: 807C30FF 00000C00
	buffer_load_dword v80, s[20:23], 0 offen lds               // 0000000037BC: E0511000 80050050
	s_add_u32 m0, 0xd00, s48                                   // 0000000037C4: 807C30FF 00000D00
	buffer_load_dword v81, s[20:23], 0 offen lds               // 0000000037CC: E0511000 80050051
	s_add_u32 m0, 0xe00, s48                                   // 0000000037D4: 807C30FF 00000E00
	buffer_load_dword v82, s[20:23], 0 offen lds               // 0000000037DC: E0511000 80050052
	s_add_u32 m0, 0xf00, s48                                   // 0000000037E4: 807C30FF 00000F00
	buffer_load_dword v83, s[20:23], 0 offen lds               // 0000000037EC: E0511000 80050053
	s_add_u32 m0, 0x1000, s48                                  // 0000000037F4: 807C30FF 00001000
	buffer_load_dword v84, s[20:23], 0 offen lds               // 0000000037FC: E0511000 80050054
	s_add_u32 m0, 0x1100, s48                                  // 000000003804: 807C30FF 00001100
	buffer_load_dword v85, s[20:23], 0 offen lds               // 00000000380C: E0511000 80050055
	s_add_u32 m0, 0x1200, s48                                  // 000000003814: 807C30FF 00001200
	buffer_load_dword v86, s[20:23], 0 offen lds               // 00000000381C: E0511000 80050056
	s_add_u32 m0, 0x1300, s48                                  // 000000003824: 807C30FF 00001300
	buffer_load_dword v87, s[20:23], 0 offen lds               // 00000000382C: E0511000 80050057
	s_add_u32 m0, 0, s49                                       // 000000003834: 807C3180
	s_add_u32 s20, s57, s20                                    // 000000003838: 80141439
	s_addc_u32 s21, 0, s21                                     // 00000000383C: 82151580
	buffer_load_dword v38, v28, s[28:31], 0 offen              // 000000003840: E0501000 8007261C
	buffer_load_dword v39, v29, s[28:31], 0 offen              // 000000003848: E0501000 8007271D
	buffer_load_dword v40, v30, s[28:31], 0 offen              // 000000003850: E0501000 8007281E
	buffer_load_dword v41, v31, s[28:31], 0 offen              // 000000003858: E0501000 8007291F
	buffer_load_dword v42, v32, s[28:31], 0 offen              // 000000003860: E0501000 80072A20
	buffer_load_dword v43, v33, s[28:31], 0 offen              // 000000003868: E0501000 80072B21
	buffer_load_dword v44, v34, s[28:31], 0 offen              // 000000003870: E0501000 80072C22
	buffer_load_dword v45, v35, s[28:31], 0 offen              // 000000003878: E0501000 80072D23
	buffer_load_dword v46, v36, s[28:31], 0 offen              // 000000003880: E0501000 80072E24
	buffer_load_dword v47, v37, s[28:31], 0 offen              // 000000003888: E0501000 80072F25
	s_add_u32 s28, s3, s28                                     // 000000003890: 801C1C03
	s_addc_u32 s29, 0, s29                                     // 000000003894: 821D1D80
	buffer_load_dword v68, s[20:23], 0 offen lds               // 000000003898: E0511000 80050044
	s_add_u32 m0, 0x100, s49                                   // 0000000038A0: 807C31FF 00000100
	buffer_load_dword v69, s[20:23], 0 offen lds               // 0000000038A8: E0511000 80050045
	s_add_u32 m0, 0x200, s49                                   // 0000000038B0: 807C31FF 00000200
	buffer_load_dword v70, s[20:23], 0 offen lds               // 0000000038B8: E0511000 80050046
	s_add_u32 m0, 0x300, s49                                   // 0000000038C0: 807C31FF 00000300
	buffer_load_dword v71, s[20:23], 0 offen lds               // 0000000038C8: E0511000 80050047
	s_add_u32 m0, 0x400, s49                                   // 0000000038D0: 807C31FF 00000400
	buffer_load_dword v72, s[20:23], 0 offen lds               // 0000000038D8: E0511000 80050048
	s_add_u32 m0, 0x500, s49                                   // 0000000038E0: 807C31FF 00000500
	buffer_load_dword v73, s[20:23], 0 offen lds               // 0000000038E8: E0511000 80050049
	s_add_u32 m0, 0x600, s49                                   // 0000000038F0: 807C31FF 00000600
	buffer_load_dword v74, s[20:23], 0 offen lds               // 0000000038F8: E0511000 8005004A
	s_add_u32 m0, 0x700, s49                                   // 000000003900: 807C31FF 00000700
	buffer_load_dword v75, s[20:23], 0 offen lds               // 000000003908: E0511000 8005004B
	s_add_u32 m0, 0x800, s49                                   // 000000003910: 807C31FF 00000800
	buffer_load_dword v76, s[20:23], 0 offen lds               // 000000003918: E0511000 8005004C
	s_add_u32 m0, 0x900, s49                                   // 000000003920: 807C31FF 00000900
	buffer_load_dword v77, s[20:23], 0 offen lds               // 000000003928: E0511000 8005004D
	s_add_u32 m0, 0xa00, s49                                   // 000000003930: 807C31FF 00000A00
	buffer_load_dword v78, s[20:23], 0 offen lds               // 000000003938: E0511000 8005004E
	s_add_u32 m0, 0xb00, s49                                   // 000000003940: 807C31FF 00000B00
	buffer_load_dword v79, s[20:23], 0 offen lds               // 000000003948: E0511000 8005004F
	s_add_u32 m0, 0xc00, s49                                   // 000000003950: 807C31FF 00000C00
	buffer_load_dword v80, s[20:23], 0 offen lds               // 000000003958: E0511000 80050050
	s_add_u32 m0, 0xd00, s49                                   // 000000003960: 807C31FF 00000D00
	buffer_load_dword v81, s[20:23], 0 offen lds               // 000000003968: E0511000 80050051
	s_add_u32 m0, 0xe00, s49                                   // 000000003970: 807C31FF 00000E00
	buffer_load_dword v82, s[20:23], 0 offen lds               // 000000003978: E0511000 80050052
	s_add_u32 m0, 0xf00, s49                                   // 000000003980: 807C31FF 00000F00
	buffer_load_dword v83, s[20:23], 0 offen lds               // 000000003988: E0511000 80050053
	s_add_u32 m0, 0x1000, s49                                  // 000000003990: 807C31FF 00001000
	buffer_load_dword v84, s[20:23], 0 offen lds               // 000000003998: E0511000 80050054
	s_add_u32 m0, 0x1100, s49                                  // 0000000039A0: 807C31FF 00001100
	buffer_load_dword v85, s[20:23], 0 offen lds               // 0000000039A8: E0511000 80050055
	s_add_u32 m0, 0x1200, s49                                  // 0000000039B0: 807C31FF 00001200
	buffer_load_dword v86, s[20:23], 0 offen lds               // 0000000039B8: E0511000 80050056
	s_add_u32 m0, 0x1300, s49                                  // 0000000039C0: 807C31FF 00001300
	buffer_load_dword v87, s[20:23], 0 offen lds               // 0000000039C8: E0511000 80050057
	s_add_u32 m0, 0, s48                                       // 0000000039D0: 807C3080
	s_add_u32 s20, s57, s20                                    // 0000000039D4: 80141439
	s_addc_u32 s21, 0, s21                                     // 0000000039D8: 82151580
	buffer_load_dword v48, v28, s[28:31], 0 offen              // 0000000039DC: E0501000 8007301C
	buffer_load_dword v49, v29, s[28:31], 0 offen              // 0000000039E4: E0501000 8007311D
	buffer_load_dword v50, v30, s[28:31], 0 offen              // 0000000039EC: E0501000 8007321E
	buffer_load_dword v51, v31, s[28:31], 0 offen              // 0000000039F4: E0501000 8007331F
	buffer_load_dword v52, v32, s[28:31], 0 offen              // 0000000039FC: E0501000 80073420
	buffer_load_dword v53, v33, s[28:31], 0 offen              // 000000003A04: E0501000 80073521
	buffer_load_dword v54, v34, s[28:31], 0 offen              // 000000003A0C: E0501000 80073622
	buffer_load_dword v55, v35, s[28:31], 0 offen              // 000000003A14: E0501000 80073723
	buffer_load_dword v56, v36, s[28:31], 0 offen              // 000000003A1C: E0501000 80073824
	buffer_load_dword v57, v37, s[28:31], 0 offen              // 000000003A24: E0501000 80073925
	s_add_u32 s28, s3, s28                                     // 000000003A2C: 801C1C03
	s_addc_u32 s29, 0, s29                                     // 000000003A30: 821D1D80
	buffer_load_dword v24, v22, s[32:35], 0 offen              // 000000003A34: E0501000 80081816
	buffer_load_dwordx4 a[160:163], v88, s[24:27], 0 offen     // 000000003A3C: E05C1000 8086A058
	buffer_load_dwordx4 a[164:167], v88, s[24:27], 0 offen offset:1024// 000000003A44: E05C1400 8086A458
	buffer_load_dwordx4 a[168:171], v89, s[24:27], 0 offen     // 000000003A4C: E05C1000 8086A859
	buffer_load_dwordx4 a[172:175], v89, s[24:27], 0 offen offset:1024// 000000003A54: E05C1400 8086AC59
	s_add_u32 s24, s58, s24                                    // 000000003A5C: 8018183A
	s_addc_u32 s25, 0, s25                                     // 000000003A60: 82191980
	s_waitcnt vmcnt(45)                                        // 000000003A64: BF8C8F7D
	s_barrier                                                  // 000000003A68: BF8A0000
	ds_read_b128 a[0:3], v2                                    // 000000003A6C: DBFE0000 00000002
	ds_read_b128 a[4:7], v2 offset:64                          // 000000003A74: DBFE0040 04000002
	ds_read_b128 a[8:11], v2 offset:512                        // 000000003A7C: DBFE0200 08000002
	ds_read_b128 a[12:15], v2 offset:576                       // 000000003A84: DBFE0240 0C000002
	ds_read_b128 a[16:19], v2 offset:1024                      // 000000003A8C: DBFE0400 10000002
	ds_read_b128 a[20:23], v2 offset:1088                      // 000000003A94: DBFE0440 14000002
	ds_read_b128 a[24:27], v2 offset:1536                      // 000000003A9C: DBFE0600 18000002
	ds_read_b128 a[28:31], v2 offset:1600                      // 000000003AA4: DBFE0640 1C000002
	ds_read_b128 a[32:35], v2 offset:2048                      // 000000003AAC: DBFE0800 20000002
	ds_read_b128 a[36:39], v2 offset:2112                      // 000000003AB4: DBFE0840 24000002
	ds_read_b128 a[40:43], v2 offset:2560                      // 000000003ABC: DBFE0A00 28000002
	ds_read_b128 a[44:47], v2 offset:2624                      // 000000003AC4: DBFE0A40 2C000002
	ds_read_b128 a[48:51], v2 offset:3072                      // 000000003ACC: DBFE0C00 30000002
	ds_read_b128 a[52:55], v2 offset:3136                      // 000000003AD4: DBFE0C40 34000002
	ds_read_b128 a[56:59], v2 offset:3584                      // 000000003ADC: DBFE0E00 38000002
	ds_read_b128 a[60:63], v2 offset:3648                      // 000000003AE4: DBFE0E40 3C000002
	ds_read_b128 a[64:67], v2 offset:4096                      // 000000003AEC: DBFE1000 40000002
	ds_read_b128 a[68:71], v2 offset:4160                      // 000000003AF4: DBFE1040 44000002
	ds_read_b128 a[72:75], v2 offset:4608                      // 000000003AFC: DBFE1200 48000002
	ds_read_b128 a[76:79], v2 offset:4672                      // 000000003B04: DBFE1240 4C000002
	s_cmp_lt_i32 s7, 2                                         // 000000003B0C: BF048207
	s_cbranch_scc0 label_22A2                                  // 000000003B10: BF841E5A

0000000000003b14 <label_0445>:
	s_waitcnt vmcnt(2) lgkmcnt(0)                              // 000000003B14: BF8C0072
	s_barrier                                                  // 000000003B18: BF8A0000
	v_mov_b32_e32 v58, v38                                     // 000000003B1C: 7E740326
	v_mov_b32_e32 v59, v39                                     // 000000003B20: 7E760327
	v_mov_b32_e32 v60, v40                                     // 000000003B24: 7E780328
	v_mov_b32_e32 v61, v41                                     // 000000003B28: 7E7A0329
	v_mov_b32_e32 v62, v42                                     // 000000003B2C: 7E7C032A
	v_mov_b32_e32 v63, v43                                     // 000000003B30: 7E7E032B
	v_mov_b32_e32 v64, v44                                     // 000000003B34: 7E80032C
	v_mov_b32_e32 v65, v45                                     // 000000003B38: 7E82032D
	v_mov_b32_e32 v66, v46                                     // 000000003B3C: 7E84032E
	v_mov_b32_e32 v67, v47                                     // 000000003B40: 7E86032F
	v_mul_f32_dpp v4, v24, v58 row_newbcast:0 row_mask:0xf bank_mask:0xf// 000000003B44: 0A0874FA FF015018
	v_mfma_f32_16x16x32_fp8_fp8 v[8:11], a[160:161], a[0:1], 0 // 000000003B4C: D3F30008 1A0201A0
	buffer_load_dword v27, v23, s[32:35], 0 offen              // 000000003B54: E0501000 80081B17
	v_mfma_f32_16x16x32_fp8_fp8 v[8:11], a[162:163], a[2:3], v[8:11]// 000000003B5C: D3F30008 1C2205A2
	buffer_load_dwordx4 a[176:179], v88, s[84:87], 0 offen     // 000000003B64: E05C1000 8095B058
	v_mfma_f32_16x16x32_fp8_fp8 v[8:11], a[164:165], a[4:5], v[8:11]// 000000003B6C: D3F30008 1C2209A4
	v_mfma_f32_16x16x32_fp8_fp8 v[8:11], a[166:167], a[6:7], v[8:11]// 000000003B74: D3F30008 1C220DA6
	v_mul_f32_dpp v6, v24, v59 row_newbcast:0 row_mask:0xf bank_mask:0xf// 000000003B7C: 0A0C76FA FF015018
	v_mfma_f32_16x16x32_fp8_fp8 v[12:15], a[160:161], a[8:9], 0// 000000003B84: D3F3000C 1A0211A0
	v_mfma_f32_16x16x32_fp8_fp8 v[12:15], a[162:163], a[10:11], v[12:15]// 000000003B8C: D3F3000C 1C3215A2
	buffer_load_dwordx4 a[180:183], v88, s[84:87], 0 offen offset:1024// 000000003B94: E05C1400 8095B458
	v_mfma_f32_16x16x32_fp8_fp8 v[12:15], a[164:165], a[12:13], v[12:15]// 000000003B9C: D3F3000C 1C3219A4
	v_mfma_f32_16x16x32_fp8_fp8 v[12:15], a[166:167], a[14:15], v[12:15]// 000000003BA4: D3F3000C 1C321DA6
	v_fma_f32 v92, v8, v4, v92                                 // 000000003BAC: D1CB005C 05720908
	v_fma_f32 v93, v9, v4, v93                                 // 000000003BB4: D1CB005D 05760909
	v_fma_f32 v94, v10, v4, v94                                // 000000003BBC: D1CB005E 057A090A
	v_fma_f32 v95, v11, v4, v95                                // 000000003BC4: D1CB005F 057E090B
	v_mul_f32_dpp v4, v24, v60 row_newbcast:0 row_mask:0xf bank_mask:0xf// 000000003BCC: 0A0878FA FF015018
	v_mfma_f32_16x16x32_fp8_fp8 v[8:11], a[160:161], a[16:17], 0// 000000003BD4: D3F30008 1A0221A0
	v_mfma_f32_16x16x32_fp8_fp8 v[8:11], a[162:163], a[18:19], v[8:11]// 000000003BDC: D3F30008 1C2225A2
	buffer_load_dwordx4 a[184:187], v89, s[84:87], 0 offen     // 000000003BE4: E05C1000 8095B859
	v_mfma_f32_16x16x32_fp8_fp8 v[8:11], a[164:165], a[20:21], v[8:11]// 000000003BEC: D3F30008 1C2229A4
	v_mfma_f32_16x16x32_fp8_fp8 v[8:11], a[166:167], a[22:23], v[8:11]// 000000003BF4: D3F30008 1C222DA6
	v_fma_f32 v96, v12, v6, v96                                // 000000003BFC: D1CB0060 05820D0C
	v_fma_f32 v97, v13, v6, v97                                // 000000003C04: D1CB0061 05860D0D
	v_fma_f32 v98, v14, v6, v98                                // 000000003C0C: D1CB0062 058A0D0E
	v_fma_f32 v99, v15, v6, v99                                // 000000003C14: D1CB0063 058E0D0F
	v_mul_f32_dpp v6, v24, v61 row_newbcast:0 row_mask:0xf bank_mask:0xf// 000000003C1C: 0A0C7AFA FF015018
	v_mfma_f32_16x16x32_fp8_fp8 v[12:15], a[160:161], a[24:25], 0// 000000003C24: D3F3000C 1A0231A0
	v_mfma_f32_16x16x32_fp8_fp8 v[12:15], a[162:163], a[26:27], v[12:15]// 000000003C2C: D3F3000C 1C3235A2
	buffer_load_dwordx4 a[188:191], v89, s[84:87], 0 offen offset:1024// 000000003C34: E05C1400 8095BC59
	buffer_load_dword v68, s[20:23], 0 offen lds               // 000000003C3C: E0511000 80050044
	s_add_u32 m0, 0x100, s48                                   // 000000003C44: 807C30FF 00000100
	v_mfma_f32_16x16x32_fp8_fp8 v[12:15], a[164:165], a[28:29], v[12:15]// 000000003C4C: D3F3000C 1C3239A4
	v_mfma_f32_16x16x32_fp8_fp8 v[12:15], a[166:167], a[30:31], v[12:15]// 000000003C54: D3F3000C 1C323DA6
	buffer_load_dword v69, s[20:23], 0 offen lds               // 000000003C5C: E0511000 80050045
	s_add_u32 m0, 0x200, s48                                   // 000000003C64: 807C30FF 00000200
	v_fma_f32 v100, v8, v4, v100                               // 000000003C6C: D1CB0064 05920908
	v_fma_f32 v101, v9, v4, v101                               // 000000003C74: D1CB0065 05960909
	v_fma_f32 v102, v10, v4, v102                              // 000000003C7C: D1CB0066 059A090A
	v_fma_f32 v103, v11, v4, v103                              // 000000003C84: D1CB0067 059E090B
	v_mul_f32_dpp v4, v24, v62 row_newbcast:0 row_mask:0xf bank_mask:0xf// 000000003C8C: 0A087CFA FF015018
	v_mfma_f32_16x16x32_fp8_fp8 v[8:11], a[160:161], a[32:33], 0// 000000003C94: D3F30008 1A0241A0
	v_mfma_f32_16x16x32_fp8_fp8 v[8:11], a[162:163], a[34:35], v[8:11]// 000000003C9C: D3F30008 1C2245A2
	buffer_load_dword v70, s[20:23], 0 offen lds               // 000000003CA4: E0511000 80050046
	s_add_u32 m0, 0x300, s48                                   // 000000003CAC: 807C30FF 00000300
	v_mfma_f32_16x16x32_fp8_fp8 v[8:11], a[164:165], a[36:37], v[8:11]// 000000003CB4: D3F30008 1C2249A4
	v_mfma_f32_16x16x32_fp8_fp8 v[8:11], a[166:167], a[38:39], v[8:11]// 000000003CBC: D3F30008 1C224DA6
	buffer_load_dword v71, s[20:23], 0 offen lds               // 000000003CC4: E0511000 80050047
	s_add_u32 m0, 0x400, s48                                   // 000000003CCC: 807C30FF 00000400
	v_fma_f32 v104, v12, v6, v104                              // 000000003CD4: D1CB0068 05A20D0C
	v_fma_f32 v105, v13, v6, v105                              // 000000003CDC: D1CB0069 05A60D0D
	v_fma_f32 v106, v14, v6, v106                              // 000000003CE4: D1CB006A 05AA0D0E
	v_fma_f32 v107, v15, v6, v107                              // 000000003CEC: D1CB006B 05AE0D0F
	v_mul_f32_dpp v6, v24, v63 row_newbcast:0 row_mask:0xf bank_mask:0xf// 000000003CF4: 0A0C7EFA FF015018
	v_mfma_f32_16x16x32_fp8_fp8 v[12:15], a[160:161], a[40:41], 0// 000000003CFC: D3F3000C 1A0251A0
	v_mfma_f32_16x16x32_fp8_fp8 v[12:15], a[162:163], a[42:43], v[12:15]// 000000003D04: D3F3000C 1C3255A2
	buffer_load_dword v72, s[20:23], 0 offen lds               // 000000003D0C: E0511000 80050048
	s_add_u32 m0, 0x500, s48                                   // 000000003D14: 807C30FF 00000500
	v_mfma_f32_16x16x32_fp8_fp8 v[12:15], a[164:165], a[44:45], v[12:15]// 000000003D1C: D3F3000C 1C3259A4
	v_mfma_f32_16x16x32_fp8_fp8 v[12:15], a[166:167], a[46:47], v[12:15]// 000000003D24: D3F3000C 1C325DA6
	buffer_load_dword v73, s[20:23], 0 offen lds               // 000000003D2C: E0511000 80050049
	s_add_u32 m0, 0x600, s48                                   // 000000003D34: 807C30FF 00000600
	v_fma_f32 v108, v8, v4, v108                               // 000000003D3C: D1CB006C 05B20908
	v_fma_f32 v109, v9, v4, v109                               // 000000003D44: D1CB006D 05B60909
	v_fma_f32 v110, v10, v4, v110                              // 000000003D4C: D1CB006E 05BA090A
	v_fma_f32 v111, v11, v4, v111                              // 000000003D54: D1CB006F 05BE090B
	v_mul_f32_dpp v4, v24, v64 row_newbcast:0 row_mask:0xf bank_mask:0xf// 000000003D5C: 0A0880FA FF015018
	v_mfma_f32_16x16x32_fp8_fp8 v[8:11], a[160:161], a[48:49], 0// 000000003D64: D3F30008 1A0261A0
	v_mfma_f32_16x16x32_fp8_fp8 v[8:11], a[162:163], a[50:51], v[8:11]// 000000003D6C: D3F30008 1C2265A2
	buffer_load_dword v74, s[20:23], 0 offen lds               // 000000003D74: E0511000 8005004A
	s_add_u32 m0, 0x700, s48                                   // 000000003D7C: 807C30FF 00000700
	v_mfma_f32_16x16x32_fp8_fp8 v[8:11], a[164:165], a[52:53], v[8:11]// 000000003D84: D3F30008 1C2269A4
	v_mfma_f32_16x16x32_fp8_fp8 v[8:11], a[166:167], a[54:55], v[8:11]// 000000003D8C: D3F30008 1C226DA6
	buffer_load_dword v75, s[20:23], 0 offen lds               // 000000003D94: E0511000 8005004B
	s_add_u32 m0, 0x800, s48                                   // 000000003D9C: 807C30FF 00000800
	v_fma_f32 v112, v12, v6, v112                              // 000000003DA4: D1CB0070 05C20D0C
	v_fma_f32 v113, v13, v6, v113                              // 000000003DAC: D1CB0071 05C60D0D
	v_fma_f32 v114, v14, v6, v114                              // 000000003DB4: D1CB0072 05CA0D0E
	v_fma_f32 v115, v15, v6, v115                              // 000000003DBC: D1CB0073 05CE0D0F
	v_mul_f32_dpp v6, v24, v65 row_newbcast:0 row_mask:0xf bank_mask:0xf// 000000003DC4: 0A0C82FA FF015018
	v_mfma_f32_16x16x32_fp8_fp8 v[12:15], a[160:161], a[56:57], 0// 000000003DCC: D3F3000C 1A0271A0
	v_mfma_f32_16x16x32_fp8_fp8 v[12:15], a[162:163], a[58:59], v[12:15]// 000000003DD4: D3F3000C 1C3275A2
	buffer_load_dword v76, s[20:23], 0 offen lds               // 000000003DDC: E0511000 8005004C
	s_add_u32 m0, 0x900, s48                                   // 000000003DE4: 807C30FF 00000900
	v_mfma_f32_16x16x32_fp8_fp8 v[12:15], a[164:165], a[60:61], v[12:15]// 000000003DEC: D3F3000C 1C3279A4
	v_mfma_f32_16x16x32_fp8_fp8 v[12:15], a[166:167], a[62:63], v[12:15]// 000000003DF4: D3F3000C 1C327DA6
	buffer_load_dword v77, s[20:23], 0 offen lds               // 000000003DFC: E0511000 8005004D
	s_add_u32 m0, 0xa00, s48                                   // 000000003E04: 807C30FF 00000A00
	v_fma_f32 v116, v8, v4, v116                               // 000000003E0C: D1CB0074 05D20908
	v_fma_f32 v117, v9, v4, v117                               // 000000003E14: D1CB0075 05D60909
	v_fma_f32 v118, v10, v4, v118                              // 000000003E1C: D1CB0076 05DA090A
	v_fma_f32 v119, v11, v4, v119                              // 000000003E24: D1CB0077 05DE090B
	v_mul_f32_dpp v4, v24, v66 row_newbcast:0 row_mask:0xf bank_mask:0xf// 000000003E2C: 0A0884FA FF015018
	v_mfma_f32_16x16x32_fp8_fp8 v[8:11], a[160:161], a[64:65], 0// 000000003E34: D3F30008 1A0281A0
	v_mfma_f32_16x16x32_fp8_fp8 v[8:11], a[162:163], a[66:67], v[8:11]// 000000003E3C: D3F30008 1C2285A2
	buffer_load_dword v78, s[20:23], 0 offen lds               // 000000003E44: E0511000 8005004E
	s_add_u32 m0, 0xb00, s48                                   // 000000003E4C: 807C30FF 00000B00
	v_mfma_f32_16x16x32_fp8_fp8 v[8:11], a[164:165], a[68:69], v[8:11]// 000000003E54: D3F30008 1C2289A4
	v_mfma_f32_16x16x32_fp8_fp8 v[8:11], a[166:167], a[70:71], v[8:11]// 000000003E5C: D3F30008 1C228DA6
	buffer_load_dword v79, s[20:23], 0 offen lds               // 000000003E64: E0511000 8005004F
	s_add_u32 m0, 0xc00, s48                                   // 000000003E6C: 807C30FF 00000C00
	v_fma_f32 v120, v12, v6, v120                              // 000000003E74: D1CB0078 05E20D0C
	v_fma_f32 v121, v13, v6, v121                              // 000000003E7C: D1CB0079 05E60D0D
	v_fma_f32 v122, v14, v6, v122                              // 000000003E84: D1CB007A 05EA0D0E
	v_fma_f32 v123, v15, v6, v123                              // 000000003E8C: D1CB007B 05EE0D0F
	v_mul_f32_dpp v6, v24, v67 row_newbcast:0 row_mask:0xf bank_mask:0xf// 000000003E94: 0A0C86FA FF015018
	v_mfma_f32_16x16x32_fp8_fp8 v[12:15], a[160:161], a[72:73], 0// 000000003E9C: D3F3000C 1A0291A0
	v_mfma_f32_16x16x32_fp8_fp8 v[12:15], a[162:163], a[74:75], v[12:15]// 000000003EA4: D3F3000C 1C3295A2
	buffer_load_dword v80, s[20:23], 0 offen lds               // 000000003EAC: E0511000 80050050
	s_add_u32 m0, 0xd00, s48                                   // 000000003EB4: 807C30FF 00000D00
	v_mfma_f32_16x16x32_fp8_fp8 v[12:15], a[164:165], a[76:77], v[12:15]// 000000003EBC: D3F3000C 1C3299A4
	v_mfma_f32_16x16x32_fp8_fp8 v[12:15], a[166:167], a[78:79], v[12:15]// 000000003EC4: D3F3000C 1C329DA6
	buffer_load_dword v81, s[20:23], 0 offen lds               // 000000003ECC: E0511000 80050051
	s_add_u32 m0, 0xe00, s48                                   // 000000003ED4: 807C30FF 00000E00
	v_fma_f32 v124, v8, v4, v124                               // 000000003EDC: D1CB007C 05F20908
	v_fma_f32 v125, v9, v4, v125                               // 000000003EE4: D1CB007D 05F60909
	v_fma_f32 v126, v10, v4, v126                              // 000000003EEC: D1CB007E 05FA090A
	v_fma_f32 v127, v11, v4, v127                              // 000000003EF4: D1CB007F 05FE090B
	s_waitcnt vmcnt(19)                                        // 000000003EFC: BF8C4F73
	v_mul_f32_dpp v4, v24, v58 row_newbcast:0 row_mask:0xf bank_mask:0xf// 000000003F00: 0A0874FA FF015018
	v_mfma_f32_16x16x32_fp8_fp8 v[8:11], a[168:169], a[0:1], 0 // 000000003F08: D3F30008 1A0201A8
	v_mfma_f32_16x16x32_fp8_fp8 v[8:11], a[170:171], a[2:3], v[8:11]// 000000003F10: D3F30008 1C2205AA
	buffer_load_dword v82, s[20:23], 0 offen lds               // 000000003F18: E0511000 80050052
	s_add_u32 m0, 0xf00, s48                                   // 000000003F20: 807C30FF 00000F00
	v_mfma_f32_16x16x32_fp8_fp8 v[8:11], a[172:173], a[4:5], v[8:11]// 000000003F28: D3F30008 1C2209AC
	v_mfma_f32_16x16x32_fp8_fp8 v[8:11], a[174:175], a[6:7], v[8:11]// 000000003F30: D3F30008 1C220DAE
	buffer_load_dword v83, s[20:23], 0 offen lds               // 000000003F38: E0511000 80050053
	s_add_u32 m0, 0x1000, s48                                  // 000000003F40: 807C30FF 00001000
	v_fma_f32 v128, v12, v6, v128                              // 000000003F48: D1CB0080 06020D0C
	v_fma_f32 v129, v13, v6, v129                              // 000000003F50: D1CB0081 06060D0D
	v_fma_f32 v130, v14, v6, v130                              // 000000003F58: D1CB0082 060A0D0E
	v_fma_f32 v131, v15, v6, v131                              // 000000003F60: D1CB0083 060E0D0F
	v_mul_f32_dpp v6, v24, v59 row_newbcast:0 row_mask:0xf bank_mask:0xf// 000000003F68: 0A0C76FA FF015018
	v_mfma_f32_16x16x32_fp8_fp8 v[12:15], a[168:169], a[8:9], 0// 000000003F70: D3F3000C 1A0211A8
	v_mfma_f32_16x16x32_fp8_fp8 v[12:15], a[170:171], a[10:11], v[12:15]// 000000003F78: D3F3000C 1C3215AA
	buffer_load_dword v84, s[20:23], 0 offen lds               // 000000003F80: E0511000 80050054
	s_add_u32 m0, 0x1100, s48                                  // 000000003F88: 807C30FF 00001100
	v_mfma_f32_16x16x32_fp8_fp8 v[12:15], a[172:173], a[12:13], v[12:15]// 000000003F90: D3F3000C 1C3219AC
	v_mfma_f32_16x16x32_fp8_fp8 v[12:15], a[174:175], a[14:15], v[12:15]// 000000003F98: D3F3000C 1C321DAE
	buffer_load_dword v85, s[20:23], 0 offen lds               // 000000003FA0: E0511000 80050055
	s_add_u32 m0, 0x1200, s48                                  // 000000003FA8: 807C30FF 00001200
	v_fma_f32 v132, v8, v4, v132                               // 000000003FB0: D1CB0084 06120908
	v_fma_f32 v133, v9, v4, v133                               // 000000003FB8: D1CB0085 06160909
	v_fma_f32 v134, v10, v4, v134                              // 000000003FC0: D1CB0086 061A090A
	v_fma_f32 v135, v11, v4, v135                              // 000000003FC8: D1CB0087 061E090B
	v_mul_f32_dpp v4, v24, v60 row_newbcast:0 row_mask:0xf bank_mask:0xf// 000000003FD0: 0A0878FA FF015018
	v_mfma_f32_16x16x32_fp8_fp8 v[8:11], a[168:169], a[16:17], 0// 000000003FD8: D3F30008 1A0221A8
	v_mfma_f32_16x16x32_fp8_fp8 v[8:11], a[170:171], a[18:19], v[8:11]// 000000003FE0: D3F30008 1C2225AA
	buffer_load_dword v86, s[20:23], 0 offen lds               // 000000003FE8: E0511000 80050056
	s_add_u32 m0, 0x1300, s48                                  // 000000003FF0: 807C30FF 00001300
	v_mfma_f32_16x16x32_fp8_fp8 v[8:11], a[172:173], a[20:21], v[8:11]// 000000003FF8: D3F30008 1C2229AC
	v_mfma_f32_16x16x32_fp8_fp8 v[8:11], a[174:175], a[22:23], v[8:11]// 000000004000: D3F30008 1C222DAE
	buffer_load_dword v87, s[20:23], 0 offen lds               // 000000004008: E0511000 80050057
	s_add_u32 m0, 0, s49                                       // 000000004010: 807C3180
	v_fma_f32 v136, v12, v6, v136                              // 000000004014: D1CB0088 06220D0C
	v_fma_f32 v137, v13, v6, v137                              // 00000000401C: D1CB0089 06260D0D
	v_fma_f32 v138, v14, v6, v138                              // 000000004024: D1CB008A 062A0D0E
	v_fma_f32 v139, v15, v6, v139                              // 00000000402C: D1CB008B 062E0D0F
	v_mul_f32_dpp v6, v24, v61 row_newbcast:0 row_mask:0xf bank_mask:0xf// 000000004034: 0A0C7AFA FF015018
	v_mfma_f32_16x16x32_fp8_fp8 v[12:15], a[168:169], a[24:25], 0// 00000000403C: D3F3000C 1A0231A8
	v_mfma_f32_16x16x32_fp8_fp8 v[12:15], a[170:171], a[26:27], v[12:15]// 000000004044: D3F3000C 1C3235AA
	buffer_load_dword v38, v28, s[28:31], 0 offen              // 00000000404C: E0501000 8007261C
	v_mfma_f32_16x16x32_fp8_fp8 v[12:15], a[172:173], a[28:29], v[12:15]// 000000004054: D3F3000C 1C3239AC
	v_mfma_f32_16x16x32_fp8_fp8 v[12:15], a[174:175], a[30:31], v[12:15]// 00000000405C: D3F3000C 1C323DAE
	buffer_load_dword v39, v29, s[28:31], 0 offen              // 000000004064: E0501000 8007271D
	v_fma_f32 v140, v8, v4, v140                               // 00000000406C: D1CB008C 06320908
	v_fma_f32 v141, v9, v4, v141                               // 000000004074: D1CB008D 06360909
	v_fma_f32 v142, v10, v4, v142                              // 00000000407C: D1CB008E 063A090A
	v_fma_f32 v143, v11, v4, v143                              // 000000004084: D1CB008F 063E090B
	v_mul_f32_dpp v4, v24, v62 row_newbcast:0 row_mask:0xf bank_mask:0xf// 00000000408C: 0A087CFA FF015018
	v_mfma_f32_16x16x32_fp8_fp8 v[8:11], a[168:169], a[32:33], 0// 000000004094: D3F30008 1A0241A8
	v_mfma_f32_16x16x32_fp8_fp8 v[8:11], a[170:171], a[34:35], v[8:11]// 00000000409C: D3F30008 1C2245AA
	buffer_load_dword v40, v30, s[28:31], 0 offen              // 0000000040A4: E0501000 8007281E
	v_mfma_f32_16x16x32_fp8_fp8 v[8:11], a[172:173], a[36:37], v[8:11]// 0000000040AC: D3F30008 1C2249AC
	v_mfma_f32_16x16x32_fp8_fp8 v[8:11], a[174:175], a[38:39], v[8:11]// 0000000040B4: D3F30008 1C224DAE
	buffer_load_dword v41, v31, s[28:31], 0 offen              // 0000000040BC: E0501000 8007291F
	v_fma_f32 v144, v12, v6, v144                              // 0000000040C4: D1CB0090 06420D0C
	v_fma_f32 v145, v13, v6, v145                              // 0000000040CC: D1CB0091 06460D0D
	v_fma_f32 v146, v14, v6, v146                              // 0000000040D4: D1CB0092 064A0D0E
	v_fma_f32 v147, v15, v6, v147                              // 0000000040DC: D1CB0093 064E0D0F
	v_mul_f32_dpp v6, v24, v63 row_newbcast:0 row_mask:0xf bank_mask:0xf// 0000000040E4: 0A0C7EFA FF015018
	v_mfma_f32_16x16x32_fp8_fp8 v[12:15], a[168:169], a[40:41], 0// 0000000040EC: D3F3000C 1A0251A8
	v_mfma_f32_16x16x32_fp8_fp8 v[12:15], a[170:171], a[42:43], v[12:15]// 0000000040F4: D3F3000C 1C3255AA
	buffer_load_dword v42, v32, s[28:31], 0 offen              // 0000000040FC: E0501000 80072A20
	v_mfma_f32_16x16x32_fp8_fp8 v[12:15], a[172:173], a[44:45], v[12:15]// 000000004104: D3F3000C 1C3259AC
	v_mfma_f32_16x16x32_fp8_fp8 v[12:15], a[174:175], a[46:47], v[12:15]// 00000000410C: D3F3000C 1C325DAE
	buffer_load_dword v43, v33, s[28:31], 0 offen              // 000000004114: E0501000 80072B21
	v_fma_f32 v148, v8, v4, v148                               // 00000000411C: D1CB0094 06520908
	v_fma_f32 v149, v9, v4, v149                               // 000000004124: D1CB0095 06560909
	v_fma_f32 v150, v10, v4, v150                              // 00000000412C: D1CB0096 065A090A
	v_fma_f32 v151, v11, v4, v151                              // 000000004134: D1CB0097 065E090B
	v_mul_f32_dpp v4, v24, v64 row_newbcast:0 row_mask:0xf bank_mask:0xf// 00000000413C: 0A0880FA FF015018
	v_mfma_f32_16x16x32_fp8_fp8 v[8:11], a[168:169], a[48:49], 0// 000000004144: D3F30008 1A0261A8
	v_mfma_f32_16x16x32_fp8_fp8 v[8:11], a[170:171], a[50:51], v[8:11]// 00000000414C: D3F30008 1C2265AA
	buffer_load_dword v44, v34, s[28:31], 0 offen              // 000000004154: E0501000 80072C22
	v_mfma_f32_16x16x32_fp8_fp8 v[8:11], a[172:173], a[52:53], v[8:11]// 00000000415C: D3F30008 1C2269AC
	v_mfma_f32_16x16x32_fp8_fp8 v[8:11], a[174:175], a[54:55], v[8:11]// 000000004164: D3F30008 1C226DAE
	buffer_load_dword v45, v35, s[28:31], 0 offen              // 00000000416C: E0501000 80072D23
	v_fma_f32 v152, v12, v6, v152                              // 000000004174: D1CB0098 06620D0C
	v_fma_f32 v153, v13, v6, v153                              // 00000000417C: D1CB0099 06660D0D
	v_fma_f32 v154, v14, v6, v154                              // 000000004184: D1CB009A 066A0D0E
	v_fma_f32 v155, v15, v6, v155                              // 00000000418C: D1CB009B 066E0D0F
	v_mul_f32_dpp v6, v24, v65 row_newbcast:0 row_mask:0xf bank_mask:0xf// 000000004194: 0A0C82FA FF015018
	v_mfma_f32_16x16x32_fp8_fp8 v[12:15], a[168:169], a[56:57], 0// 00000000419C: D3F3000C 1A0271A8
	v_mfma_f32_16x16x32_fp8_fp8 v[12:15], a[170:171], a[58:59], v[12:15]// 0000000041A4: D3F3000C 1C3275AA
	buffer_load_dword v46, v36, s[28:31], 0 offen              // 0000000041AC: E0501000 80072E24
	v_mfma_f32_16x16x32_fp8_fp8 v[12:15], a[172:173], a[60:61], v[12:15]// 0000000041B4: D3F3000C 1C3279AC
	v_mfma_f32_16x16x32_fp8_fp8 v[12:15], a[174:175], a[62:63], v[12:15]// 0000000041BC: D3F3000C 1C327DAE
	buffer_load_dword v47, v37, s[28:31], 0 offen              // 0000000041C4: E0501000 80072F25
	v_fma_f32 v156, v8, v4, v156                               // 0000000041CC: D1CB009C 06720908
	v_fma_f32 v157, v9, v4, v157                               // 0000000041D4: D1CB009D 06760909
	v_fma_f32 v158, v10, v4, v158                              // 0000000041DC: D1CB009E 067A090A
	v_fma_f32 v159, v11, v4, v159                              // 0000000041E4: D1CB009F 067E090B
	v_mul_f32_dpp v4, v24, v66 row_newbcast:0 row_mask:0xf bank_mask:0xf// 0000000041EC: 0A0884FA FF015018
	v_mfma_f32_16x16x32_fp8_fp8 v[8:11], a[168:169], a[64:65], 0// 0000000041F4: D3F30008 1A0281A8
	v_mfma_f32_16x16x32_fp8_fp8 v[8:11], a[170:171], a[66:67], v[8:11]// 0000000041FC: D3F30008 1C2285AA
	v_mfma_f32_16x16x32_fp8_fp8 v[8:11], a[172:173], a[68:69], v[8:11]// 000000004204: D3F30008 1C2289AC
	v_mfma_f32_16x16x32_fp8_fp8 v[8:11], a[174:175], a[70:71], v[8:11]// 00000000420C: D3F30008 1C228DAE
	v_fma_f32 v160, v12, v6, v160                              // 000000004214: D1CB00A0 06820D0C
	v_fma_f32 v161, v13, v6, v161                              // 00000000421C: D1CB00A1 06860D0D
	v_fma_f32 v162, v14, v6, v162                              // 000000004224: D1CB00A2 068A0D0E
	v_fma_f32 v163, v15, v6, v163                              // 00000000422C: D1CB00A3 068E0D0F
	v_mul_f32_dpp v6, v24, v67 row_newbcast:0 row_mask:0xf bank_mask:0xf// 000000004234: 0A0C86FA FF015018
	v_mfma_f32_16x16x32_fp8_fp8 v[12:15], a[168:169], a[72:73], 0// 00000000423C: D3F3000C 1A0291A8
	v_mfma_f32_16x16x32_fp8_fp8 v[12:15], a[170:171], a[74:75], v[12:15]// 000000004244: D3F3000C 1C3295AA
	s_add_u32 s60, 0x80, s80                                   // 00000000424C: 803C50FF 00000080
	s_cmp_lt_u32 s60, s81                                      // 000000004254: BF0A513C
	s_cselect_b32 s83, s83, 0                                  // 000000004258: 85538053
	s_cselect_b32 s4, s4, 0                                    // 00000000425C: 85048004
	v_mfma_f32_16x16x32_fp8_fp8 v[12:15], a[172:173], a[76:77], v[12:15]// 000000004260: D3F3000C 1C3299AC
	s_add_u32 s32, s4, s32                                     // 000000004268: 80202004
	s_addc_u32 s33, 0, s33                                     // 00000000426C: 82212180
	v_mfma_f32_16x16x32_fp8_fp8 v[12:15], a[174:175], a[78:79], v[12:15]// 000000004270: D3F3000C 1C329DAE
	v_fma_f32 v164, v8, v4, v164                               // 000000004278: D1CB00A4 06920908
	v_fma_f32 v165, v9, v4, v165                               // 000000004280: D1CB00A5 06960909
	v_fma_f32 v166, v10, v4, v166                              // 000000004288: D1CB00A6 069A090A
	v_fma_f32 v167, v11, v4, v167                              // 000000004290: D1CB00A7 069E090B
	v_fma_f32 v168, v12, v6, v168                              // 000000004298: D1CB00A8 06A20D0C
	v_fma_f32 v169, v13, v6, v169                              // 0000000042A0: D1CB00A9 06A60D0D
	v_fma_f32 v170, v14, v6, v170                              // 0000000042A8: D1CB00AA 06AA0D0E
	v_fma_f32 v171, v15, v6, v171                              // 0000000042B0: D1CB00AB 06AE0D0F
	s_waitcnt vmcnt(30)                                        // 0000000042B8: BF8C4F7E
	v_mul_f32_dpp v4, v27, v58 row_newbcast:0 row_mask:0xf bank_mask:0xf// 0000000042BC: 0A0874FA FF01501B
	v_mfma_f32_16x16x32_fp8_fp8 v[8:11], a[176:177], a[0:1], 0 // 0000000042C4: D3F30008 1A0201B0
	buffer_load_dword v24, v22, s[32:35], 0 offen              // 0000000042CC: E0501000 80081816
	v_mfma_f32_16x16x32_fp8_fp8 v[8:11], a[178:179], a[2:3], v[8:11]// 0000000042D4: D3F30008 1C2205B2
	buffer_load_dwordx4 a[160:163], v88, s[24:27], 0 offen     // 0000000042DC: E05C1000 8086A058
	v_mfma_f32_16x16x32_fp8_fp8 v[8:11], a[180:181], a[4:5], v[8:11]// 0000000042E4: D3F30008 1C2209B4
	v_mfma_f32_16x16x32_fp8_fp8 v[8:11], a[182:183], a[6:7], v[8:11]// 0000000042EC: D3F30008 1C220DB6
	ds_read_b128 a[80:83], v2 offset:20608                     // 0000000042F4: DBFE5080 50000002
	ds_read_b128 a[84:87], v2 offset:20672                     // 0000000042FC: DBFE50C0 54000002
	v_mfma_f32_16x16x32_fp8_fp8 v[12:15], a[184:185], a[0:1], 0// 000000004304: D3F3000C 1A0201B8
	v_mfma_f32_16x16x32_fp8_fp8 v[12:15], a[186:187], a[2:3], v[12:15]// 00000000430C: D3F3000C 1C3205BA
	buffer_load_dwordx4 a[164:167], v88, s[24:27], 0 offen offset:1024// 000000004314: E05C1400 8086A458
	v_mfma_f32_16x16x32_fp8_fp8 v[12:15], a[188:189], a[4:5], v[12:15]// 00000000431C: D3F3000C 1C3209BC
	v_mfma_f32_16x16x32_fp8_fp8 v[12:15], a[190:191], a[6:7], v[12:15]// 000000004324: D3F3000C 1C320DBE
	ds_read_b128 a[88:91], v2 offset:21120                     // 00000000432C: DBFE5280 58000002
	ds_read_b128 a[92:95], v2 offset:21184                     // 000000004334: DBFE52C0 5C000002
	v_fma_f32 v172, v8, v4, v172                               // 00000000433C: D1CB00AC 06B20908
	v_fma_f32 v173, v9, v4, v173                               // 000000004344: D1CB00AD 06B60909
	v_fma_f32 v174, v10, v4, v174                              // 00000000434C: D1CB00AE 06BA090A
	v_fma_f32 v175, v11, v4, v175                              // 000000004354: D1CB00AF 06BE090B
	v_mul_f32_dpp v6, v27, v59 row_newbcast:0 row_mask:0xf bank_mask:0xf// 00000000435C: 0A0C76FA FF01501B
	v_mfma_f32_16x16x32_fp8_fp8 v[8:11], a[176:177], a[8:9], 0 // 000000004364: D3F30008 1A0211B0
	v_mfma_f32_16x16x32_fp8_fp8 v[8:11], a[178:179], a[10:11], v[8:11]// 00000000436C: D3F30008 1C2215B2
	buffer_load_dwordx4 a[168:171], v89, s[24:27], 0 offen     // 000000004374: E05C1000 8086A859
	v_mfma_f32_16x16x32_fp8_fp8 v[8:11], a[180:181], a[12:13], v[8:11]// 00000000437C: D3F30008 1C2219B4
	v_mfma_f32_16x16x32_fp8_fp8 v[8:11], a[182:183], a[14:15], v[8:11]// 000000004384: D3F30008 1C221DB6
	ds_read_b128 a[96:99], v2 offset:21632                     // 00000000438C: DBFE5480 60000002
	ds_read_b128 a[100:103], v2 offset:21696                   // 000000004394: DBFE54C0 64000002
	v_fma_f32 v212, v12, v4, v212                              // 00000000439C: D1CB00D4 0752090C
	v_fma_f32 v213, v13, v4, v213                              // 0000000043A4: D1CB00D5 0756090D
	v_fma_f32 v214, v14, v4, v214                              // 0000000043AC: D1CB00D6 075A090E
	v_fma_f32 v215, v15, v4, v215                              // 0000000043B4: D1CB00D7 075E090F
	v_mfma_f32_16x16x32_fp8_fp8 v[12:15], a[184:185], a[8:9], 0// 0000000043BC: D3F3000C 1A0211B8
	v_mfma_f32_16x16x32_fp8_fp8 v[12:15], a[186:187], a[10:11], v[12:15]// 0000000043C4: D3F3000C 1C3215BA
	buffer_load_dwordx4 a[172:175], v89, s[24:27], 0 offen offset:1024// 0000000043CC: E05C1400 8086AC59
	v_mfma_f32_16x16x32_fp8_fp8 v[12:15], a[188:189], a[12:13], v[12:15]// 0000000043D4: D3F3000C 1C3219BC
	v_mfma_f32_16x16x32_fp8_fp8 v[12:15], a[190:191], a[14:15], v[12:15]// 0000000043DC: D3F3000C 1C321DBE
	ds_read_b128 a[104:107], v2 offset:22144                   // 0000000043E4: DBFE5680 68000002
	ds_read_b128 a[108:111], v2 offset:22208                   // 0000000043EC: DBFE56C0 6C000002
	v_fma_f32 v176, v8, v6, v176                               // 0000000043F4: D1CB00B0 06C20D08
	v_fma_f32 v177, v9, v6, v177                               // 0000000043FC: D1CB00B1 06C60D09
	v_fma_f32 v178, v10, v6, v178                              // 000000004404: D1CB00B2 06CA0D0A
	v_fma_f32 v179, v11, v6, v179                              // 00000000440C: D1CB00B3 06CE0D0B
	v_mul_f32_dpp v4, v27, v60 row_newbcast:0 row_mask:0xf bank_mask:0xf// 000000004414: 0A0878FA FF01501B
	v_mfma_f32_16x16x32_fp8_fp8 v[8:11], a[176:177], a[16:17], 0// 00000000441C: D3F30008 1A0221B0
	v_mfma_f32_16x16x32_fp8_fp8 v[8:11], a[178:179], a[18:19], v[8:11]// 000000004424: D3F30008 1C2225B2
	v_mfma_f32_16x16x32_fp8_fp8 v[8:11], a[180:181], a[20:21], v[8:11]// 00000000442C: D3F30008 1C2229B4
	v_mfma_f32_16x16x32_fp8_fp8 v[8:11], a[182:183], a[22:23], v[8:11]// 000000004434: D3F30008 1C222DB6
	ds_read_b128 a[112:115], v2 offset:22656                   // 00000000443C: DBFE5880 70000002
	ds_read_b128 a[116:119], v2 offset:22720                   // 000000004444: DBFE58C0 74000002
	v_fma_f32 v216, v12, v6, v216                              // 00000000444C: D1CB00D8 07620D0C
	v_fma_f32 v217, v13, v6, v217                              // 000000004454: D1CB00D9 07660D0D
	v_fma_f32 v218, v14, v6, v218                              // 00000000445C: D1CB00DA 076A0D0E
	v_fma_f32 v219, v15, v6, v219                              // 000000004464: D1CB00DB 076E0D0F
	v_mfma_f32_16x16x32_fp8_fp8 v[12:15], a[184:185], a[16:17], 0// 00000000446C: D3F3000C 1A0221B8
	v_mfma_f32_16x16x32_fp8_fp8 v[12:15], a[186:187], a[18:19], v[12:15]// 000000004474: D3F3000C 1C3225BA
	v_mfma_f32_16x16x32_fp8_fp8 v[12:15], a[188:189], a[20:21], v[12:15]// 00000000447C: D3F3000C 1C3229BC
	v_mfma_f32_16x16x32_fp8_fp8 v[12:15], a[190:191], a[22:23], v[12:15]// 000000004484: D3F3000C 1C322DBE
	ds_read_b128 a[120:123], v2 offset:23168                   // 00000000448C: DBFE5A80 78000002
	ds_read_b128 a[124:127], v2 offset:23232                   // 000000004494: DBFE5AC0 7C000002
	v_fma_f32 v180, v8, v4, v180                               // 00000000449C: D1CB00B4 06D20908
	v_fma_f32 v181, v9, v4, v181                               // 0000000044A4: D1CB00B5 06D60909
	v_fma_f32 v182, v10, v4, v182                              // 0000000044AC: D1CB00B6 06DA090A
	v_fma_f32 v183, v11, v4, v183                              // 0000000044B4: D1CB00B7 06DE090B
	v_mul_f32_dpp v6, v27, v61 row_newbcast:0 row_mask:0xf bank_mask:0xf// 0000000044BC: 0A0C7AFA FF01501B
	v_mfma_f32_16x16x32_fp8_fp8 v[8:11], a[176:177], a[24:25], 0// 0000000044C4: D3F30008 1A0231B0
	v_mfma_f32_16x16x32_fp8_fp8 v[8:11], a[178:179], a[26:27], v[8:11]// 0000000044CC: D3F30008 1C2235B2
	v_mfma_f32_16x16x32_fp8_fp8 v[8:11], a[180:181], a[28:29], v[8:11]// 0000000044D4: D3F30008 1C2239B4
	v_mfma_f32_16x16x32_fp8_fp8 v[8:11], a[182:183], a[30:31], v[8:11]// 0000000044DC: D3F30008 1C223DB6
	ds_read_b128 a[128:131], v2 offset:23680                   // 0000000044E4: DBFE5C80 80000002
	ds_read_b128 a[132:135], v2 offset:23744                   // 0000000044EC: DBFE5CC0 84000002
	v_fma_f32 v220, v12, v4, v220                              // 0000000044F4: D1CB00DC 0772090C
	v_fma_f32 v221, v13, v4, v221                              // 0000000044FC: D1CB00DD 0776090D
	v_fma_f32 v222, v14, v4, v222                              // 000000004504: D1CB00DE 077A090E
	v_fma_f32 v223, v15, v4, v223                              // 00000000450C: D1CB00DF 077E090F
	v_mfma_f32_16x16x32_fp8_fp8 v[12:15], a[184:185], a[24:25], 0// 000000004514: D3F3000C 1A0231B8
	v_mfma_f32_16x16x32_fp8_fp8 v[12:15], a[186:187], a[26:27], v[12:15]// 00000000451C: D3F3000C 1C3235BA
	v_mfma_f32_16x16x32_fp8_fp8 v[12:15], a[188:189], a[28:29], v[12:15]// 000000004524: D3F3000C 1C3239BC
	v_mfma_f32_16x16x32_fp8_fp8 v[12:15], a[190:191], a[30:31], v[12:15]// 00000000452C: D3F3000C 1C323DBE
	ds_read_b128 a[136:139], v2 offset:24192                   // 000000004534: DBFE5E80 88000002
	ds_read_b128 a[140:143], v2 offset:24256                   // 00000000453C: DBFE5EC0 8C000002
	v_fma_f32 v184, v8, v6, v184                               // 000000004544: D1CB00B8 06E20D08
	v_fma_f32 v185, v9, v6, v185                               // 00000000454C: D1CB00B9 06E60D09
	v_fma_f32 v186, v10, v6, v186                              // 000000004554: D1CB00BA 06EA0D0A
	v_fma_f32 v187, v11, v6, v187                              // 00000000455C: D1CB00BB 06EE0D0B
	v_mul_f32_dpp v4, v27, v62 row_newbcast:0 row_mask:0xf bank_mask:0xf// 000000004564: 0A087CFA FF01501B
	v_mfma_f32_16x16x32_fp8_fp8 v[8:11], a[176:177], a[32:33], 0// 00000000456C: D3F30008 1A0241B0
	v_mfma_f32_16x16x32_fp8_fp8 v[8:11], a[178:179], a[34:35], v[8:11]// 000000004574: D3F30008 1C2245B2
	v_mfma_f32_16x16x32_fp8_fp8 v[8:11], a[180:181], a[36:37], v[8:11]// 00000000457C: D3F30008 1C2249B4
	v_mfma_f32_16x16x32_fp8_fp8 v[8:11], a[182:183], a[38:39], v[8:11]// 000000004584: D3F30008 1C224DB6
	ds_read_b128 a[144:147], v2 offset:24704                   // 00000000458C: DBFE6080 90000002
	ds_read_b128 a[148:151], v2 offset:24768                   // 000000004594: DBFE60C0 94000002
	v_fma_f32 v224, v12, v6, v224                              // 00000000459C: D1CB00E0 07820D0C
	v_fma_f32 v225, v13, v6, v225                              // 0000000045A4: D1CB00E1 07860D0D
	v_fma_f32 v226, v14, v6, v226                              // 0000000045AC: D1CB00E2 078A0D0E
	v_fma_f32 v227, v15, v6, v227                              // 0000000045B4: D1CB00E3 078E0D0F
	v_mfma_f32_16x16x32_fp8_fp8 v[12:15], a[184:185], a[32:33], 0// 0000000045BC: D3F3000C 1A0241B8
	v_mfma_f32_16x16x32_fp8_fp8 v[12:15], a[186:187], a[34:35], v[12:15]// 0000000045C4: D3F3000C 1C3245BA
	v_mfma_f32_16x16x32_fp8_fp8 v[12:15], a[188:189], a[36:37], v[12:15]// 0000000045CC: D3F3000C 1C3249BC
	v_mfma_f32_16x16x32_fp8_fp8 v[12:15], a[190:191], a[38:39], v[12:15]// 0000000045D4: D3F3000C 1C324DBE
	ds_read_b128 a[152:155], v2 offset:25216                   // 0000000045DC: DBFE6280 98000002
	ds_read_b128 a[156:159], v2 offset:25280                   // 0000000045E4: DBFE62C0 9C000002
	v_fma_f32 v188, v8, v4, v188                               // 0000000045EC: D1CB00BC 06F20908
	v_fma_f32 v189, v9, v4, v189                               // 0000000045F4: D1CB00BD 06F60909
	v_fma_f32 v190, v10, v4, v190                              // 0000000045FC: D1CB00BE 06FA090A
	v_fma_f32 v191, v11, v4, v191                              // 000000004604: D1CB00BF 06FE090B
	v_mul_f32_dpp v6, v27, v63 row_newbcast:0 row_mask:0xf bank_mask:0xf// 00000000460C: 0A0C7EFA FF01501B
	v_mfma_f32_16x16x32_fp8_fp8 v[8:11], a[176:177], a[40:41], 0// 000000004614: D3F30008 1A0251B0
	v_mfma_f32_16x16x32_fp8_fp8 v[8:11], a[178:179], a[42:43], v[8:11]// 00000000461C: D3F30008 1C2255B2
	v_mfma_f32_16x16x32_fp8_fp8 v[8:11], a[180:181], a[44:45], v[8:11]// 000000004624: D3F30008 1C2259B4
	v_mfma_f32_16x16x32_fp8_fp8 v[8:11], a[182:183], a[46:47], v[8:11]// 00000000462C: D3F30008 1C225DB6
	v_fma_f32 v228, v12, v4, v228                              // 000000004634: D1CB00E4 0792090C
	v_fma_f32 v229, v13, v4, v229                              // 00000000463C: D1CB00E5 0796090D
	v_fma_f32 v230, v14, v4, v230                              // 000000004644: D1CB00E6 079A090E
	v_fma_f32 v231, v15, v4, v231                              // 00000000464C: D1CB00E7 079E090F
	v_mfma_f32_16x16x32_fp8_fp8 v[12:15], a[184:185], a[40:41], 0// 000000004654: D3F3000C 1A0251B8
	v_mfma_f32_16x16x32_fp8_fp8 v[12:15], a[186:187], a[42:43], v[12:15]// 00000000465C: D3F3000C 1C3255BA
	v_mfma_f32_16x16x32_fp8_fp8 v[12:15], a[188:189], a[44:45], v[12:15]// 000000004664: D3F3000C 1C3259BC
	v_mfma_f32_16x16x32_fp8_fp8 v[12:15], a[190:191], a[46:47], v[12:15]// 00000000466C: D3F3000C 1C325DBE
	v_fma_f32 v192, v8, v6, v192                               // 000000004674: D1CB00C0 07020D08
	v_fma_f32 v193, v9, v6, v193                               // 00000000467C: D1CB00C1 07060D09
	v_fma_f32 v194, v10, v6, v194                              // 000000004684: D1CB00C2 070A0D0A
	v_fma_f32 v195, v11, v6, v195                              // 00000000468C: D1CB00C3 070E0D0B
	v_mul_f32_dpp v4, v27, v64 row_newbcast:0 row_mask:0xf bank_mask:0xf// 000000004694: 0A0880FA FF01501B
	v_mfma_f32_16x16x32_fp8_fp8 v[8:11], a[176:177], a[48:49], 0// 00000000469C: D3F30008 1A0261B0
	v_mfma_f32_16x16x32_fp8_fp8 v[8:11], a[178:179], a[50:51], v[8:11]// 0000000046A4: D3F30008 1C2265B2
	v_mfma_f32_16x16x32_fp8_fp8 v[8:11], a[180:181], a[52:53], v[8:11]// 0000000046AC: D3F30008 1C2269B4
	v_mfma_f32_16x16x32_fp8_fp8 v[8:11], a[182:183], a[54:55], v[8:11]// 0000000046B4: D3F30008 1C226DB6
	v_fma_f32 v232, v12, v6, v232                              // 0000000046BC: D1CB00E8 07A20D0C
	v_fma_f32 v233, v13, v6, v233                              // 0000000046C4: D1CB00E9 07A60D0D
	v_fma_f32 v234, v14, v6, v234                              // 0000000046CC: D1CB00EA 07AA0D0E
	v_fma_f32 v235, v15, v6, v235                              // 0000000046D4: D1CB00EB 07AE0D0F
	v_mfma_f32_16x16x32_fp8_fp8 v[12:15], a[184:185], a[48:49], 0// 0000000046DC: D3F3000C 1A0261B8
	v_mfma_f32_16x16x32_fp8_fp8 v[12:15], a[186:187], a[50:51], v[12:15]// 0000000046E4: D3F3000C 1C3265BA
	v_mfma_f32_16x16x32_fp8_fp8 v[12:15], a[188:189], a[52:53], v[12:15]// 0000000046EC: D3F3000C 1C3269BC
	v_mfma_f32_16x16x32_fp8_fp8 v[12:15], a[190:191], a[54:55], v[12:15]// 0000000046F4: D3F3000C 1C326DBE
	v_fma_f32 v196, v8, v4, v196                               // 0000000046FC: D1CB00C4 07120908
	v_fma_f32 v197, v9, v4, v197                               // 000000004704: D1CB00C5 07160909
	v_fma_f32 v198, v10, v4, v198                              // 00000000470C: D1CB00C6 071A090A
	v_fma_f32 v199, v11, v4, v199                              // 000000004714: D1CB00C7 071E090B
	v_mul_f32_dpp v6, v27, v65 row_newbcast:0 row_mask:0xf bank_mask:0xf// 00000000471C: 0A0C82FA FF01501B
	v_mfma_f32_16x16x32_fp8_fp8 v[8:11], a[176:177], a[56:57], 0// 000000004724: D3F30008 1A0271B0
	v_mfma_f32_16x16x32_fp8_fp8 v[8:11], a[178:179], a[58:59], v[8:11]// 00000000472C: D3F30008 1C2275B2
	v_mfma_f32_16x16x32_fp8_fp8 v[8:11], a[180:181], a[60:61], v[8:11]// 000000004734: D3F30008 1C2279B4
	v_mfma_f32_16x16x32_fp8_fp8 v[8:11], a[182:183], a[62:63], v[8:11]// 00000000473C: D3F30008 1C227DB6
	v_fma_f32 v236, v12, v4, v236                              // 000000004744: D1CB00EC 07B2090C
	v_fma_f32 v237, v13, v4, v237                              // 00000000474C: D1CB00ED 07B6090D
	v_fma_f32 v238, v14, v4, v238                              // 000000004754: D1CB00EE 07BA090E
	v_fma_f32 v239, v15, v4, v239                              // 00000000475C: D1CB00EF 07BE090F
	v_mfma_f32_16x16x32_fp8_fp8 v[12:15], a[184:185], a[56:57], 0// 000000004764: D3F3000C 1A0271B8
	v_mfma_f32_16x16x32_fp8_fp8 v[12:15], a[186:187], a[58:59], v[12:15]// 00000000476C: D3F3000C 1C3275BA
	v_mfma_f32_16x16x32_fp8_fp8 v[12:15], a[188:189], a[60:61], v[12:15]// 000000004774: D3F3000C 1C3279BC
	v_mfma_f32_16x16x32_fp8_fp8 v[12:15], a[190:191], a[62:63], v[12:15]// 00000000477C: D3F3000C 1C327DBE
	v_fma_f32 v200, v8, v6, v200                               // 000000004784: D1CB00C8 07220D08
	v_fma_f32 v201, v9, v6, v201                               // 00000000478C: D1CB00C9 07260D09
	v_fma_f32 v202, v10, v6, v202                              // 000000004794: D1CB00CA 072A0D0A
	v_fma_f32 v203, v11, v6, v203                              // 00000000479C: D1CB00CB 072E0D0B
	v_mul_f32_dpp v4, v27, v66 row_newbcast:0 row_mask:0xf bank_mask:0xf// 0000000047A4: 0A0884FA FF01501B
	v_mfma_f32_16x16x32_fp8_fp8 v[8:11], a[176:177], a[64:65], 0// 0000000047AC: D3F30008 1A0281B0
	v_mfma_f32_16x16x32_fp8_fp8 v[8:11], a[178:179], a[66:67], v[8:11]// 0000000047B4: D3F30008 1C2285B2
	v_mfma_f32_16x16x32_fp8_fp8 v[8:11], a[180:181], a[68:69], v[8:11]// 0000000047BC: D3F30008 1C2289B4
	v_mfma_f32_16x16x32_fp8_fp8 v[8:11], a[182:183], a[70:71], v[8:11]// 0000000047C4: D3F30008 1C228DB6
	v_fma_f32 v240, v12, v6, v240                              // 0000000047CC: D1CB00F0 07C20D0C
	v_fma_f32 v241, v13, v6, v241                              // 0000000047D4: D1CB00F1 07C60D0D
	v_fma_f32 v242, v14, v6, v242                              // 0000000047DC: D1CB00F2 07CA0D0E
	v_fma_f32 v243, v15, v6, v243                              // 0000000047E4: D1CB00F3 07CE0D0F
	v_mfma_f32_16x16x32_fp8_fp8 v[12:15], a[184:185], a[64:65], 0// 0000000047EC: D3F3000C 1A0281B8
	v_mfma_f32_16x16x32_fp8_fp8 v[12:15], a[186:187], a[66:67], v[12:15]// 0000000047F4: D3F3000C 1C3285BA
	v_mfma_f32_16x16x32_fp8_fp8 v[12:15], a[188:189], a[68:69], v[12:15]// 0000000047FC: D3F3000C 1C3289BC
	v_mfma_f32_16x16x32_fp8_fp8 v[12:15], a[190:191], a[70:71], v[12:15]// 000000004804: D3F3000C 1C328DBE
	v_fma_f32 v204, v8, v4, v204                               // 00000000480C: D1CB00CC 07320908
	v_fma_f32 v205, v9, v4, v205                               // 000000004814: D1CB00CD 07360909
	v_fma_f32 v206, v10, v4, v206                              // 00000000481C: D1CB00CE 073A090A
	v_fma_f32 v207, v11, v4, v207                              // 000000004824: D1CB00CF 073E090B
	v_mul_f32_dpp v6, v27, v67 row_newbcast:0 row_mask:0xf bank_mask:0xf// 00000000482C: 0A0C86FA FF01501B
	v_mfma_f32_16x16x32_fp8_fp8 v[8:11], a[176:177], a[72:73], 0// 000000004834: D3F30008 1A0291B0
	v_mfma_f32_16x16x32_fp8_fp8 v[8:11], a[178:179], a[74:75], v[8:11]// 00000000483C: D3F30008 1C2295B2
	v_mfma_f32_16x16x32_fp8_fp8 v[8:11], a[180:181], a[76:77], v[8:11]// 000000004844: D3F30008 1C2299B4
	s_add_u32 s60, 0x180, s80                                  // 00000000484C: 803C50FF 00000180
	s_cmp_lt_u32 s60, s81                                      // 000000004854: BF0A513C
	s_cselect_b32 s57, s57, 0                                  // 000000004858: 85398039
	s_cselect_b32 s3, s3, 0                                    // 00000000485C: 85038003
	v_mfma_f32_16x16x32_fp8_fp8 v[8:11], a[182:183], a[78:79], v[8:11]// 000000004860: D3F30008 1C229DB6
	s_add_u32 s60, 0x100, s80                                  // 000000004868: 803C50FF 00000100
	s_cmp_lt_u32 s60, s81                                      // 000000004870: BF0A513C
	s_cselect_b32 s58, s58, 0                                  // 000000004874: 853A803A
	v_fma_f32 v244, v12, v4, v244                              // 000000004878: D1CB00F4 07D2090C
	v_fma_f32 v245, v13, v4, v245                              // 000000004880: D1CB00F5 07D6090D
	v_fma_f32 v246, v14, v4, v246                              // 000000004888: D1CB00F6 07DA090E
	v_fma_f32 v247, v15, v4, v247                              // 000000004890: D1CB00F7 07DE090F
	v_mfma_f32_16x16x32_fp8_fp8 v[12:15], a[184:185], a[72:73], 0// 000000004898: D3F3000C 1A0291B8
	s_add_u32 s24, s58, s24                                    // 0000000048A0: 8018183A
	s_addc_u32 s25, 0, s25                                     // 0000000048A4: 82191980
	v_mfma_f32_16x16x32_fp8_fp8 v[12:15], a[186:187], a[74:75], v[12:15]// 0000000048A8: D3F3000C 1C3295BA
	s_add_u32 s20, s57, s20                                    // 0000000048B0: 80141439
	s_addc_u32 s21, 0, s21                                     // 0000000048B4: 82151580
	s_add_u32 s28, s3, s28                                     // 0000000048B8: 801C1C03
	s_addc_u32 s29, 0, s29                                     // 0000000048BC: 821D1D80
	v_mfma_f32_16x16x32_fp8_fp8 v[12:15], a[188:189], a[76:77], v[12:15]// 0000000048C0: D3F3000C 1C3299BC
	s_add_u32 s84, s83, s84                                    // 0000000048C8: 80545453
	s_addc_u32 s85, 0, s85                                     // 0000000048CC: 82555580
	v_mfma_f32_16x16x32_fp8_fp8 v[12:15], a[190:191], a[78:79], v[12:15]// 0000000048D0: D3F3000C 1C329DBE
	v_fma_f32 v208, v8, v6, v208                               // 0000000048D8: D1CB00D0 07420D08
	v_fma_f32 v209, v9, v6, v209                               // 0000000048E0: D1CB00D1 07460D09
	v_fma_f32 v210, v10, v6, v210                              // 0000000048E8: D1CB00D2 074A0D0A
	v_fma_f32 v211, v11, v6, v211                              // 0000000048F0: D1CB00D3 074E0D0B
	v_fma_f32 v248, v12, v6, v248                              // 0000000048F8: D1CB00F8 07E20D0C
	v_fma_f32 v249, v13, v6, v249                              // 000000004900: D1CB00F9 07E60D0D
	v_fma_f32 v250, v14, v6, v250                              // 000000004908: D1CB00FA 07EA0D0E
	v_fma_f32 v251, v15, v6, v251                              // 000000004910: D1CB00FB 07EE0D0F
	s_addk_i32 s80, 0x80                                       // 000000004918: B7500080
	s_cmp_lt_i32 s80, s81                                      // 00000000491C: BF045150
	s_cbranch_scc0 label_0B4E                                  // 000000004920: BF840385
	s_waitcnt vmcnt(2) lgkmcnt(0)                              // 000000004924: BF8C0072
	s_barrier                                                  // 000000004928: BF8A0000
	v_mov_b32_e32 v58, v48                                     // 00000000492C: 7E740330
	v_mov_b32_e32 v59, v49                                     // 000000004930: 7E760331
	v_mov_b32_e32 v60, v50                                     // 000000004934: 7E780332
	v_mov_b32_e32 v61, v51                                     // 000000004938: 7E7A0333
	v_mov_b32_e32 v62, v52                                     // 00000000493C: 7E7C0334
	v_mov_b32_e32 v63, v53                                     // 000000004940: 7E7E0335
	v_mov_b32_e32 v64, v54                                     // 000000004944: 7E800336
	v_mov_b32_e32 v65, v55                                     // 000000004948: 7E820337
	v_mov_b32_e32 v66, v56                                     // 00000000494C: 7E840338
	v_mov_b32_e32 v67, v57                                     // 000000004950: 7E860339
	v_mul_f32_dpp v4, v24, v58 row_newbcast:0 row_mask:0xf bank_mask:0xf// 000000004954: 0A0874FA FF015018
	v_mfma_f32_16x16x32_fp8_fp8 v[8:11], a[160:161], a[80:81], 0// 00000000495C: D3F30008 1A02A1A0
	buffer_load_dword v27, v23, s[32:35], 0 offen              // 000000004964: E0501000 80081B17
	v_mfma_f32_16x16x32_fp8_fp8 v[8:11], a[162:163], a[82:83], v[8:11]// 00000000496C: D3F30008 1C22A5A2
	buffer_load_dwordx4 a[176:179], v88, s[84:87], 0 offen     // 000000004974: E05C1000 8095B058
	v_mfma_f32_16x16x32_fp8_fp8 v[8:11], a[164:165], a[84:85], v[8:11]// 00000000497C: D3F30008 1C22A9A4
	v_mfma_f32_16x16x32_fp8_fp8 v[8:11], a[166:167], a[86:87], v[8:11]// 000000004984: D3F30008 1C22ADA6
	v_mul_f32_dpp v6, v24, v59 row_newbcast:0 row_mask:0xf bank_mask:0xf// 00000000498C: 0A0C76FA FF015018
	v_mfma_f32_16x16x32_fp8_fp8 v[12:15], a[160:161], a[88:89], 0// 000000004994: D3F3000C 1A02B1A0
	v_mfma_f32_16x16x32_fp8_fp8 v[12:15], a[162:163], a[90:91], v[12:15]// 00000000499C: D3F3000C 1C32B5A2
	buffer_load_dwordx4 a[180:183], v88, s[84:87], 0 offen offset:1024// 0000000049A4: E05C1400 8095B458
	v_mfma_f32_16x16x32_fp8_fp8 v[12:15], a[164:165], a[92:93], v[12:15]// 0000000049AC: D3F3000C 1C32B9A4
	v_mfma_f32_16x16x32_fp8_fp8 v[12:15], a[166:167], a[94:95], v[12:15]// 0000000049B4: D3F3000C 1C32BDA6
	v_fma_f32 v92, v8, v4, v92                                 // 0000000049BC: D1CB005C 05720908
	v_fma_f32 v93, v9, v4, v93                                 // 0000000049C4: D1CB005D 05760909
	v_fma_f32 v94, v10, v4, v94                                // 0000000049CC: D1CB005E 057A090A
	v_fma_f32 v95, v11, v4, v95                                // 0000000049D4: D1CB005F 057E090B
	v_mul_f32_dpp v4, v24, v60 row_newbcast:0 row_mask:0xf bank_mask:0xf// 0000000049DC: 0A0878FA FF015018
	v_mfma_f32_16x16x32_fp8_fp8 v[8:11], a[160:161], a[96:97], 0// 0000000049E4: D3F30008 1A02C1A0
	v_mfma_f32_16x16x32_fp8_fp8 v[8:11], a[162:163], a[98:99], v[8:11]// 0000000049EC: D3F30008 1C22C5A2
	buffer_load_dwordx4 a[184:187], v89, s[84:87], 0 offen     // 0000000049F4: E05C1000 8095B859
	v_mfma_f32_16x16x32_fp8_fp8 v[8:11], a[164:165], a[100:101], v[8:11]// 0000000049FC: D3F30008 1C22C9A4
	v_mfma_f32_16x16x32_fp8_fp8 v[8:11], a[166:167], a[102:103], v[8:11]// 000000004A04: D3F30008 1C22CDA6
	v_fma_f32 v96, v12, v6, v96                                // 000000004A0C: D1CB0060 05820D0C
	v_fma_f32 v97, v13, v6, v97                                // 000000004A14: D1CB0061 05860D0D
	v_fma_f32 v98, v14, v6, v98                                // 000000004A1C: D1CB0062 058A0D0E
	v_fma_f32 v99, v15, v6, v99                                // 000000004A24: D1CB0063 058E0D0F
	v_mul_f32_dpp v6, v24, v61 row_newbcast:0 row_mask:0xf bank_mask:0xf// 000000004A2C: 0A0C7AFA FF015018
	v_mfma_f32_16x16x32_fp8_fp8 v[12:15], a[160:161], a[104:105], 0// 000000004A34: D3F3000C 1A02D1A0
	v_mfma_f32_16x16x32_fp8_fp8 v[12:15], a[162:163], a[106:107], v[12:15]// 000000004A3C: D3F3000C 1C32D5A2
	buffer_load_dwordx4 a[188:191], v89, s[84:87], 0 offen offset:1024// 000000004A44: E05C1400 8095BC59
	buffer_load_dword v68, s[20:23], 0 offen lds               // 000000004A4C: E0511000 80050044
	s_add_u32 m0, 0x100, s49                                   // 000000004A54: 807C31FF 00000100
	v_mfma_f32_16x16x32_fp8_fp8 v[12:15], a[164:165], a[108:109], v[12:15]// 000000004A5C: D3F3000C 1C32D9A4
	v_mfma_f32_16x16x32_fp8_fp8 v[12:15], a[166:167], a[110:111], v[12:15]// 000000004A64: D3F3000C 1C32DDA6
	buffer_load_dword v69, s[20:23], 0 offen lds               // 000000004A6C: E0511000 80050045
	s_add_u32 m0, 0x200, s49                                   // 000000004A74: 807C31FF 00000200
	v_fma_f32 v100, v8, v4, v100                               // 000000004A7C: D1CB0064 05920908
	v_fma_f32 v101, v9, v4, v101                               // 000000004A84: D1CB0065 05960909
	v_fma_f32 v102, v10, v4, v102                              // 000000004A8C: D1CB0066 059A090A
	v_fma_f32 v103, v11, v4, v103                              // 000000004A94: D1CB0067 059E090B
	v_mul_f32_dpp v4, v24, v62 row_newbcast:0 row_mask:0xf bank_mask:0xf// 000000004A9C: 0A087CFA FF015018
	v_mfma_f32_16x16x32_fp8_fp8 v[8:11], a[160:161], a[112:113], 0// 000000004AA4: D3F30008 1A02E1A0
	v_mfma_f32_16x16x32_fp8_fp8 v[8:11], a[162:163], a[114:115], v[8:11]// 000000004AAC: D3F30008 1C22E5A2
	buffer_load_dword v70, s[20:23], 0 offen lds               // 000000004AB4: E0511000 80050046
	s_add_u32 m0, 0x300, s49                                   // 000000004ABC: 807C31FF 00000300
	v_mfma_f32_16x16x32_fp8_fp8 v[8:11], a[164:165], a[116:117], v[8:11]// 000000004AC4: D3F30008 1C22E9A4
	v_mfma_f32_16x16x32_fp8_fp8 v[8:11], a[166:167], a[118:119], v[8:11]// 000000004ACC: D3F30008 1C22EDA6
	buffer_load_dword v71, s[20:23], 0 offen lds               // 000000004AD4: E0511000 80050047
	s_add_u32 m0, 0x400, s49                                   // 000000004ADC: 807C31FF 00000400
	v_fma_f32 v104, v12, v6, v104                              // 000000004AE4: D1CB0068 05A20D0C
	v_fma_f32 v105, v13, v6, v105                              // 000000004AEC: D1CB0069 05A60D0D
	v_fma_f32 v106, v14, v6, v106                              // 000000004AF4: D1CB006A 05AA0D0E
	v_fma_f32 v107, v15, v6, v107                              // 000000004AFC: D1CB006B 05AE0D0F
	v_mul_f32_dpp v6, v24, v63 row_newbcast:0 row_mask:0xf bank_mask:0xf// 000000004B04: 0A0C7EFA FF015018
	v_mfma_f32_16x16x32_fp8_fp8 v[12:15], a[160:161], a[120:121], 0// 000000004B0C: D3F3000C 1A02F1A0
	v_mfma_f32_16x16x32_fp8_fp8 v[12:15], a[162:163], a[122:123], v[12:15]// 000000004B14: D3F3000C 1C32F5A2
	buffer_load_dword v72, s[20:23], 0 offen lds               // 000000004B1C: E0511000 80050048
	s_add_u32 m0, 0x500, s49                                   // 000000004B24: 807C31FF 00000500
	v_mfma_f32_16x16x32_fp8_fp8 v[12:15], a[164:165], a[124:125], v[12:15]// 000000004B2C: D3F3000C 1C32F9A4
	v_mfma_f32_16x16x32_fp8_fp8 v[12:15], a[166:167], a[126:127], v[12:15]// 000000004B34: D3F3000C 1C32FDA6
	buffer_load_dword v73, s[20:23], 0 offen lds               // 000000004B3C: E0511000 80050049
	s_add_u32 m0, 0x600, s49                                   // 000000004B44: 807C31FF 00000600
	v_fma_f32 v108, v8, v4, v108                               // 000000004B4C: D1CB006C 05B20908
	v_fma_f32 v109, v9, v4, v109                               // 000000004B54: D1CB006D 05B60909
	v_fma_f32 v110, v10, v4, v110                              // 000000004B5C: D1CB006E 05BA090A
	v_fma_f32 v111, v11, v4, v111                              // 000000004B64: D1CB006F 05BE090B
	v_mul_f32_dpp v4, v24, v64 row_newbcast:0 row_mask:0xf bank_mask:0xf// 000000004B6C: 0A0880FA FF015018
	v_mfma_f32_16x16x32_fp8_fp8 v[8:11], a[160:161], a[128:129], 0// 000000004B74: D3F30008 1A0301A0
	v_mfma_f32_16x16x32_fp8_fp8 v[8:11], a[162:163], a[130:131], v[8:11]// 000000004B7C: D3F30008 1C2305A2
	buffer_load_dword v74, s[20:23], 0 offen lds               // 000000004B84: E0511000 8005004A
	s_add_u32 m0, 0x700, s49                                   // 000000004B8C: 807C31FF 00000700
	v_mfma_f32_16x16x32_fp8_fp8 v[8:11], a[164:165], a[132:133], v[8:11]// 000000004B94: D3F30008 1C2309A4
	v_mfma_f32_16x16x32_fp8_fp8 v[8:11], a[166:167], a[134:135], v[8:11]// 000000004B9C: D3F30008 1C230DA6
	buffer_load_dword v75, s[20:23], 0 offen lds               // 000000004BA4: E0511000 8005004B
	s_add_u32 m0, 0x800, s49                                   // 000000004BAC: 807C31FF 00000800
	v_fma_f32 v112, v12, v6, v112                              // 000000004BB4: D1CB0070 05C20D0C
	v_fma_f32 v113, v13, v6, v113                              // 000000004BBC: D1CB0071 05C60D0D
	v_fma_f32 v114, v14, v6, v114                              // 000000004BC4: D1CB0072 05CA0D0E
	v_fma_f32 v115, v15, v6, v115                              // 000000004BCC: D1CB0073 05CE0D0F
	v_mul_f32_dpp v6, v24, v65 row_newbcast:0 row_mask:0xf bank_mask:0xf// 000000004BD4: 0A0C82FA FF015018
	v_mfma_f32_16x16x32_fp8_fp8 v[12:15], a[160:161], a[136:137], 0// 000000004BDC: D3F3000C 1A0311A0
	v_mfma_f32_16x16x32_fp8_fp8 v[12:15], a[162:163], a[138:139], v[12:15]// 000000004BE4: D3F3000C 1C3315A2
	buffer_load_dword v76, s[20:23], 0 offen lds               // 000000004BEC: E0511000 8005004C
	s_add_u32 m0, 0x900, s49                                   // 000000004BF4: 807C31FF 00000900
	v_mfma_f32_16x16x32_fp8_fp8 v[12:15], a[164:165], a[140:141], v[12:15]// 000000004BFC: D3F3000C 1C3319A4
	v_mfma_f32_16x16x32_fp8_fp8 v[12:15], a[166:167], a[142:143], v[12:15]// 000000004C04: D3F3000C 1C331DA6
	buffer_load_dword v77, s[20:23], 0 offen lds               // 000000004C0C: E0511000 8005004D
	s_add_u32 m0, 0xa00, s49                                   // 000000004C14: 807C31FF 00000A00
	v_fma_f32 v116, v8, v4, v116                               // 000000004C1C: D1CB0074 05D20908
	v_fma_f32 v117, v9, v4, v117                               // 000000004C24: D1CB0075 05D60909
	v_fma_f32 v118, v10, v4, v118                              // 000000004C2C: D1CB0076 05DA090A
	v_fma_f32 v119, v11, v4, v119                              // 000000004C34: D1CB0077 05DE090B
	v_mul_f32_dpp v4, v24, v66 row_newbcast:0 row_mask:0xf bank_mask:0xf// 000000004C3C: 0A0884FA FF015018
	v_mfma_f32_16x16x32_fp8_fp8 v[8:11], a[160:161], a[144:145], 0// 000000004C44: D3F30008 1A0321A0
	v_mfma_f32_16x16x32_fp8_fp8 v[8:11], a[162:163], a[146:147], v[8:11]// 000000004C4C: D3F30008 1C2325A2
	buffer_load_dword v78, s[20:23], 0 offen lds               // 000000004C54: E0511000 8005004E
	s_add_u32 m0, 0xb00, s49                                   // 000000004C5C: 807C31FF 00000B00
	v_mfma_f32_16x16x32_fp8_fp8 v[8:11], a[164:165], a[148:149], v[8:11]// 000000004C64: D3F30008 1C2329A4
	v_mfma_f32_16x16x32_fp8_fp8 v[8:11], a[166:167], a[150:151], v[8:11]// 000000004C6C: D3F30008 1C232DA6
	buffer_load_dword v79, s[20:23], 0 offen lds               // 000000004C74: E0511000 8005004F
	s_add_u32 m0, 0xc00, s49                                   // 000000004C7C: 807C31FF 00000C00
	v_fma_f32 v120, v12, v6, v120                              // 000000004C84: D1CB0078 05E20D0C
	v_fma_f32 v121, v13, v6, v121                              // 000000004C8C: D1CB0079 05E60D0D
	v_fma_f32 v122, v14, v6, v122                              // 000000004C94: D1CB007A 05EA0D0E
	v_fma_f32 v123, v15, v6, v123                              // 000000004C9C: D1CB007B 05EE0D0F
	v_mul_f32_dpp v6, v24, v67 row_newbcast:0 row_mask:0xf bank_mask:0xf// 000000004CA4: 0A0C86FA FF015018
	v_mfma_f32_16x16x32_fp8_fp8 v[12:15], a[160:161], a[152:153], 0// 000000004CAC: D3F3000C 1A0331A0
	v_mfma_f32_16x16x32_fp8_fp8 v[12:15], a[162:163], a[154:155], v[12:15]// 000000004CB4: D3F3000C 1C3335A2
	buffer_load_dword v80, s[20:23], 0 offen lds               // 000000004CBC: E0511000 80050050
	s_add_u32 m0, 0xd00, s49                                   // 000000004CC4: 807C31FF 00000D00
	v_mfma_f32_16x16x32_fp8_fp8 v[12:15], a[164:165], a[156:157], v[12:15]// 000000004CCC: D3F3000C 1C3339A4
	v_mfma_f32_16x16x32_fp8_fp8 v[12:15], a[166:167], a[158:159], v[12:15]// 000000004CD4: D3F3000C 1C333DA6
	buffer_load_dword v81, s[20:23], 0 offen lds               // 000000004CDC: E0511000 80050051
	s_add_u32 m0, 0xe00, s49                                   // 000000004CE4: 807C31FF 00000E00
	v_fma_f32 v124, v8, v4, v124                               // 000000004CEC: D1CB007C 05F20908
	v_fma_f32 v125, v9, v4, v125                               // 000000004CF4: D1CB007D 05F60909
	v_fma_f32 v126, v10, v4, v126                              // 000000004CFC: D1CB007E 05FA090A
	v_fma_f32 v127, v11, v4, v127                              // 000000004D04: D1CB007F 05FE090B
	s_waitcnt vmcnt(19)                                        // 000000004D0C: BF8C4F73
	v_mul_f32_dpp v4, v24, v58 row_newbcast:0 row_mask:0xf bank_mask:0xf// 000000004D10: 0A0874FA FF015018
	v_mfma_f32_16x16x32_fp8_fp8 v[8:11], a[168:169], a[80:81], 0// 000000004D18: D3F30008 1A02A1A8
	v_mfma_f32_16x16x32_fp8_fp8 v[8:11], a[170:171], a[82:83], v[8:11]// 000000004D20: D3F30008 1C22A5AA
	buffer_load_dword v82, s[20:23], 0 offen lds               // 000000004D28: E0511000 80050052
	s_add_u32 m0, 0xf00, s49                                   // 000000004D30: 807C31FF 00000F00
	v_mfma_f32_16x16x32_fp8_fp8 v[8:11], a[172:173], a[84:85], v[8:11]// 000000004D38: D3F30008 1C22A9AC
	v_mfma_f32_16x16x32_fp8_fp8 v[8:11], a[174:175], a[86:87], v[8:11]// 000000004D40: D3F30008 1C22ADAE
	buffer_load_dword v83, s[20:23], 0 offen lds               // 000000004D48: E0511000 80050053
	s_add_u32 m0, 0x1000, s49                                  // 000000004D50: 807C31FF 00001000
	v_fma_f32 v128, v12, v6, v128                              // 000000004D58: D1CB0080 06020D0C
	v_fma_f32 v129, v13, v6, v129                              // 000000004D60: D1CB0081 06060D0D
	v_fma_f32 v130, v14, v6, v130                              // 000000004D68: D1CB0082 060A0D0E
	v_fma_f32 v131, v15, v6, v131                              // 000000004D70: D1CB0083 060E0D0F
	v_mul_f32_dpp v6, v24, v59 row_newbcast:0 row_mask:0xf bank_mask:0xf// 000000004D78: 0A0C76FA FF015018
	v_mfma_f32_16x16x32_fp8_fp8 v[12:15], a[168:169], a[88:89], 0// 000000004D80: D3F3000C 1A02B1A8
	v_mfma_f32_16x16x32_fp8_fp8 v[12:15], a[170:171], a[90:91], v[12:15]// 000000004D88: D3F3000C 1C32B5AA
	buffer_load_dword v84, s[20:23], 0 offen lds               // 000000004D90: E0511000 80050054
	s_add_u32 m0, 0x1100, s49                                  // 000000004D98: 807C31FF 00001100
	v_mfma_f32_16x16x32_fp8_fp8 v[12:15], a[172:173], a[92:93], v[12:15]// 000000004DA0: D3F3000C 1C32B9AC
	v_mfma_f32_16x16x32_fp8_fp8 v[12:15], a[174:175], a[94:95], v[12:15]// 000000004DA8: D3F3000C 1C32BDAE
	buffer_load_dword v85, s[20:23], 0 offen lds               // 000000004DB0: E0511000 80050055
	s_add_u32 m0, 0x1200, s49                                  // 000000004DB8: 807C31FF 00001200
	v_fma_f32 v132, v8, v4, v132                               // 000000004DC0: D1CB0084 06120908
	v_fma_f32 v133, v9, v4, v133                               // 000000004DC8: D1CB0085 06160909
	v_fma_f32 v134, v10, v4, v134                              // 000000004DD0: D1CB0086 061A090A
	v_fma_f32 v135, v11, v4, v135                              // 000000004DD8: D1CB0087 061E090B
	v_mul_f32_dpp v4, v24, v60 row_newbcast:0 row_mask:0xf bank_mask:0xf// 000000004DE0: 0A0878FA FF015018
	v_mfma_f32_16x16x32_fp8_fp8 v[8:11], a[168:169], a[96:97], 0// 000000004DE8: D3F30008 1A02C1A8
	v_mfma_f32_16x16x32_fp8_fp8 v[8:11], a[170:171], a[98:99], v[8:11]// 000000004DF0: D3F30008 1C22C5AA
	buffer_load_dword v86, s[20:23], 0 offen lds               // 000000004DF8: E0511000 80050056
	s_add_u32 m0, 0x1300, s49                                  // 000000004E00: 807C31FF 00001300
	v_mfma_f32_16x16x32_fp8_fp8 v[8:11], a[172:173], a[100:101], v[8:11]// 000000004E08: D3F30008 1C22C9AC
	v_mfma_f32_16x16x32_fp8_fp8 v[8:11], a[174:175], a[102:103], v[8:11]// 000000004E10: D3F30008 1C22CDAE
	buffer_load_dword v87, s[20:23], 0 offen lds               // 000000004E18: E0511000 80050057
	s_add_u32 m0, 0, s48                                       // 000000004E20: 807C3080
	v_fma_f32 v136, v12, v6, v136                              // 000000004E24: D1CB0088 06220D0C
	v_fma_f32 v137, v13, v6, v137                              // 000000004E2C: D1CB0089 06260D0D
	v_fma_f32 v138, v14, v6, v138                              // 000000004E34: D1CB008A 062A0D0E
	v_fma_f32 v139, v15, v6, v139                              // 000000004E3C: D1CB008B 062E0D0F
	v_mul_f32_dpp v6, v24, v61 row_newbcast:0 row_mask:0xf bank_mask:0xf// 000000004E44: 0A0C7AFA FF015018
	v_mfma_f32_16x16x32_fp8_fp8 v[12:15], a[168:169], a[104:105], 0// 000000004E4C: D3F3000C 1A02D1A8
	v_mfma_f32_16x16x32_fp8_fp8 v[12:15], a[170:171], a[106:107], v[12:15]// 000000004E54: D3F3000C 1C32D5AA
	buffer_load_dword v48, v28, s[28:31], 0 offen              // 000000004E5C: E0501000 8007301C
	v_mfma_f32_16x16x32_fp8_fp8 v[12:15], a[172:173], a[108:109], v[12:15]// 000000004E64: D3F3000C 1C32D9AC
	v_mfma_f32_16x16x32_fp8_fp8 v[12:15], a[174:175], a[110:111], v[12:15]// 000000004E6C: D3F3000C 1C32DDAE
	buffer_load_dword v49, v29, s[28:31], 0 offen              // 000000004E74: E0501000 8007311D
	v_fma_f32 v140, v8, v4, v140                               // 000000004E7C: D1CB008C 06320908
	v_fma_f32 v141, v9, v4, v141                               // 000000004E84: D1CB008D 06360909
	v_fma_f32 v142, v10, v4, v142                              // 000000004E8C: D1CB008E 063A090A
	v_fma_f32 v143, v11, v4, v143                              // 000000004E94: D1CB008F 063E090B
	v_mul_f32_dpp v4, v24, v62 row_newbcast:0 row_mask:0xf bank_mask:0xf// 000000004E9C: 0A087CFA FF015018
	v_mfma_f32_16x16x32_fp8_fp8 v[8:11], a[168:169], a[112:113], 0// 000000004EA4: D3F30008 1A02E1A8
	v_mfma_f32_16x16x32_fp8_fp8 v[8:11], a[170:171], a[114:115], v[8:11]// 000000004EAC: D3F30008 1C22E5AA
	buffer_load_dword v50, v30, s[28:31], 0 offen              // 000000004EB4: E0501000 8007321E
	v_mfma_f32_16x16x32_fp8_fp8 v[8:11], a[172:173], a[116:117], v[8:11]// 000000004EBC: D3F30008 1C22E9AC
	v_mfma_f32_16x16x32_fp8_fp8 v[8:11], a[174:175], a[118:119], v[8:11]// 000000004EC4: D3F30008 1C22EDAE
	buffer_load_dword v51, v31, s[28:31], 0 offen              // 000000004ECC: E0501000 8007331F
	v_fma_f32 v144, v12, v6, v144                              // 000000004ED4: D1CB0090 06420D0C
	v_fma_f32 v145, v13, v6, v145                              // 000000004EDC: D1CB0091 06460D0D
	v_fma_f32 v146, v14, v6, v146                              // 000000004EE4: D1CB0092 064A0D0E
	v_fma_f32 v147, v15, v6, v147                              // 000000004EEC: D1CB0093 064E0D0F
	v_mul_f32_dpp v6, v24, v63 row_newbcast:0 row_mask:0xf bank_mask:0xf// 000000004EF4: 0A0C7EFA FF015018
	v_mfma_f32_16x16x32_fp8_fp8 v[12:15], a[168:169], a[120:121], 0// 000000004EFC: D3F3000C 1A02F1A8
	v_mfma_f32_16x16x32_fp8_fp8 v[12:15], a[170:171], a[122:123], v[12:15]// 000000004F04: D3F3000C 1C32F5AA
	buffer_load_dword v52, v32, s[28:31], 0 offen              // 000000004F0C: E0501000 80073420
	v_mfma_f32_16x16x32_fp8_fp8 v[12:15], a[172:173], a[124:125], v[12:15]// 000000004F14: D3F3000C 1C32F9AC
	v_mfma_f32_16x16x32_fp8_fp8 v[12:15], a[174:175], a[126:127], v[12:15]// 000000004F1C: D3F3000C 1C32FDAE
	buffer_load_dword v53, v33, s[28:31], 0 offen              // 000000004F24: E0501000 80073521
	v_fma_f32 v148, v8, v4, v148                               // 000000004F2C: D1CB0094 06520908
	v_fma_f32 v149, v9, v4, v149                               // 000000004F34: D1CB0095 06560909
	v_fma_f32 v150, v10, v4, v150                              // 000000004F3C: D1CB0096 065A090A
	v_fma_f32 v151, v11, v4, v151                              // 000000004F44: D1CB0097 065E090B
	v_mul_f32_dpp v4, v24, v64 row_newbcast:0 row_mask:0xf bank_mask:0xf// 000000004F4C: 0A0880FA FF015018
	v_mfma_f32_16x16x32_fp8_fp8 v[8:11], a[168:169], a[128:129], 0// 000000004F54: D3F30008 1A0301A8
	v_mfma_f32_16x16x32_fp8_fp8 v[8:11], a[170:171], a[130:131], v[8:11]// 000000004F5C: D3F30008 1C2305AA
	buffer_load_dword v54, v34, s[28:31], 0 offen              // 000000004F64: E0501000 80073622
	v_mfma_f32_16x16x32_fp8_fp8 v[8:11], a[172:173], a[132:133], v[8:11]// 000000004F6C: D3F30008 1C2309AC
	v_mfma_f32_16x16x32_fp8_fp8 v[8:11], a[174:175], a[134:135], v[8:11]// 000000004F74: D3F30008 1C230DAE
	buffer_load_dword v55, v35, s[28:31], 0 offen              // 000000004F7C: E0501000 80073723
	v_fma_f32 v152, v12, v6, v152                              // 000000004F84: D1CB0098 06620D0C
	v_fma_f32 v153, v13, v6, v153                              // 000000004F8C: D1CB0099 06660D0D
	v_fma_f32 v154, v14, v6, v154                              // 000000004F94: D1CB009A 066A0D0E
	v_fma_f32 v155, v15, v6, v155                              // 000000004F9C: D1CB009B 066E0D0F
	v_mul_f32_dpp v6, v24, v65 row_newbcast:0 row_mask:0xf bank_mask:0xf// 000000004FA4: 0A0C82FA FF015018
	v_mfma_f32_16x16x32_fp8_fp8 v[12:15], a[168:169], a[136:137], 0// 000000004FAC: D3F3000C 1A0311A8
	v_mfma_f32_16x16x32_fp8_fp8 v[12:15], a[170:171], a[138:139], v[12:15]// 000000004FB4: D3F3000C 1C3315AA
	buffer_load_dword v56, v36, s[28:31], 0 offen              // 000000004FBC: E0501000 80073824
	v_mfma_f32_16x16x32_fp8_fp8 v[12:15], a[172:173], a[140:141], v[12:15]// 000000004FC4: D3F3000C 1C3319AC
	v_mfma_f32_16x16x32_fp8_fp8 v[12:15], a[174:175], a[142:143], v[12:15]// 000000004FCC: D3F3000C 1C331DAE
	buffer_load_dword v57, v37, s[28:31], 0 offen              // 000000004FD4: E0501000 80073925
	v_fma_f32 v156, v8, v4, v156                               // 000000004FDC: D1CB009C 06720908
	v_fma_f32 v157, v9, v4, v157                               // 000000004FE4: D1CB009D 06760909
	v_fma_f32 v158, v10, v4, v158                              // 000000004FEC: D1CB009E 067A090A
	v_fma_f32 v159, v11, v4, v159                              // 000000004FF4: D1CB009F 067E090B
	v_mul_f32_dpp v4, v24, v66 row_newbcast:0 row_mask:0xf bank_mask:0xf// 000000004FFC: 0A0884FA FF015018
	v_mfma_f32_16x16x32_fp8_fp8 v[8:11], a[168:169], a[144:145], 0// 000000005004: D3F30008 1A0321A8
	v_mfma_f32_16x16x32_fp8_fp8 v[8:11], a[170:171], a[146:147], v[8:11]// 00000000500C: D3F30008 1C2325AA
	v_mfma_f32_16x16x32_fp8_fp8 v[8:11], a[172:173], a[148:149], v[8:11]// 000000005014: D3F30008 1C2329AC
	v_mfma_f32_16x16x32_fp8_fp8 v[8:11], a[174:175], a[150:151], v[8:11]// 00000000501C: D3F30008 1C232DAE
	v_fma_f32 v160, v12, v6, v160                              // 000000005024: D1CB00A0 06820D0C
	v_fma_f32 v161, v13, v6, v161                              // 00000000502C: D1CB00A1 06860D0D
	v_fma_f32 v162, v14, v6, v162                              // 000000005034: D1CB00A2 068A0D0E
	v_fma_f32 v163, v15, v6, v163                              // 00000000503C: D1CB00A3 068E0D0F
	v_mul_f32_dpp v6, v24, v67 row_newbcast:0 row_mask:0xf bank_mask:0xf// 000000005044: 0A0C86FA FF015018
	v_mfma_f32_16x16x32_fp8_fp8 v[12:15], a[168:169], a[152:153], 0// 00000000504C: D3F3000C 1A0331A8
	v_mfma_f32_16x16x32_fp8_fp8 v[12:15], a[170:171], a[154:155], v[12:15]// 000000005054: D3F3000C 1C3335AA
	s_add_u32 s60, 0x80, s80                                   // 00000000505C: 803C50FF 00000080
	s_cmp_lt_u32 s60, s81                                      // 000000005064: BF0A513C
	s_cselect_b32 s83, s83, 0                                  // 000000005068: 85538053
	s_cselect_b32 s4, s4, 0                                    // 00000000506C: 85048004
	v_mfma_f32_16x16x32_fp8_fp8 v[12:15], a[172:173], a[156:157], v[12:15]// 000000005070: D3F3000C 1C3339AC
	s_add_u32 s32, s4, s32                                     // 000000005078: 80202004
	s_addc_u32 s33, 0, s33                                     // 00000000507C: 82212180
	v_mfma_f32_16x16x32_fp8_fp8 v[12:15], a[174:175], a[158:159], v[12:15]// 000000005080: D3F3000C 1C333DAE
	v_fma_f32 v164, v8, v4, v164                               // 000000005088: D1CB00A4 06920908
	v_fma_f32 v165, v9, v4, v165                               // 000000005090: D1CB00A5 06960909
	v_fma_f32 v166, v10, v4, v166                              // 000000005098: D1CB00A6 069A090A
	v_fma_f32 v167, v11, v4, v167                              // 0000000050A0: D1CB00A7 069E090B
	v_fma_f32 v168, v12, v6, v168                              // 0000000050A8: D1CB00A8 06A20D0C
	v_fma_f32 v169, v13, v6, v169                              // 0000000050B0: D1CB00A9 06A60D0D
	v_fma_f32 v170, v14, v6, v170                              // 0000000050B8: D1CB00AA 06AA0D0E
	v_fma_f32 v171, v15, v6, v171                              // 0000000050C0: D1CB00AB 06AE0D0F
	s_waitcnt vmcnt(30)                                        // 0000000050C8: BF8C4F7E
	v_mul_f32_dpp v4, v27, v58 row_newbcast:0 row_mask:0xf bank_mask:0xf// 0000000050CC: 0A0874FA FF01501B
	v_mfma_f32_16x16x32_fp8_fp8 v[8:11], a[176:177], a[80:81], 0// 0000000050D4: D3F30008 1A02A1B0
	buffer_load_dword v24, v22, s[32:35], 0 offen              // 0000000050DC: E0501000 80081816
	v_mfma_f32_16x16x32_fp8_fp8 v[8:11], a[178:179], a[82:83], v[8:11]// 0000000050E4: D3F30008 1C22A5B2
	buffer_load_dwordx4 a[160:163], v88, s[24:27], 0 offen     // 0000000050EC: E05C1000 8086A058
	v_mfma_f32_16x16x32_fp8_fp8 v[8:11], a[180:181], a[84:85], v[8:11]// 0000000050F4: D3F30008 1C22A9B4
	v_mfma_f32_16x16x32_fp8_fp8 v[8:11], a[182:183], a[86:87], v[8:11]// 0000000050FC: D3F30008 1C22ADB6
	ds_read_b128 a[0:3], v2                                    // 000000005104: DBFE0000 00000002
	ds_read_b128 a[4:7], v2 offset:64                          // 00000000510C: DBFE0040 04000002
	v_mfma_f32_16x16x32_fp8_fp8 v[12:15], a[184:185], a[80:81], 0// 000000005114: D3F3000C 1A02A1B8
	v_mfma_f32_16x16x32_fp8_fp8 v[12:15], a[186:187], a[82:83], v[12:15]// 00000000511C: D3F3000C 1C32A5BA
	buffer_load_dwordx4 a[164:167], v88, s[24:27], 0 offen offset:1024// 000000005124: E05C1400 8086A458
	v_mfma_f32_16x16x32_fp8_fp8 v[12:15], a[188:189], a[84:85], v[12:15]// 00000000512C: D3F3000C 1C32A9BC
	v_mfma_f32_16x16x32_fp8_fp8 v[12:15], a[190:191], a[86:87], v[12:15]// 000000005134: D3F3000C 1C32ADBE
	ds_read_b128 a[8:11], v2 offset:512                        // 00000000513C: DBFE0200 08000002
	ds_read_b128 a[12:15], v2 offset:576                       // 000000005144: DBFE0240 0C000002
	v_fma_f32 v172, v8, v4, v172                               // 00000000514C: D1CB00AC 06B20908
	v_fma_f32 v173, v9, v4, v173                               // 000000005154: D1CB00AD 06B60909
	v_fma_f32 v174, v10, v4, v174                              // 00000000515C: D1CB00AE 06BA090A
	v_fma_f32 v175, v11, v4, v175                              // 000000005164: D1CB00AF 06BE090B
	v_mul_f32_dpp v6, v27, v59 row_newbcast:0 row_mask:0xf bank_mask:0xf// 00000000516C: 0A0C76FA FF01501B
	v_mfma_f32_16x16x32_fp8_fp8 v[8:11], a[176:177], a[88:89], 0// 000000005174: D3F30008 1A02B1B0
	v_mfma_f32_16x16x32_fp8_fp8 v[8:11], a[178:179], a[90:91], v[8:11]// 00000000517C: D3F30008 1C22B5B2
	buffer_load_dwordx4 a[168:171], v89, s[24:27], 0 offen     // 000000005184: E05C1000 8086A859
	v_mfma_f32_16x16x32_fp8_fp8 v[8:11], a[180:181], a[92:93], v[8:11]// 00000000518C: D3F30008 1C22B9B4
	v_mfma_f32_16x16x32_fp8_fp8 v[8:11], a[182:183], a[94:95], v[8:11]// 000000005194: D3F30008 1C22BDB6
	ds_read_b128 a[16:19], v2 offset:1024                      // 00000000519C: DBFE0400 10000002
	ds_read_b128 a[20:23], v2 offset:1088                      // 0000000051A4: DBFE0440 14000002
	v_fma_f32 v212, v12, v4, v212                              // 0000000051AC: D1CB00D4 0752090C
	v_fma_f32 v213, v13, v4, v213                              // 0000000051B4: D1CB00D5 0756090D
	v_fma_f32 v214, v14, v4, v214                              // 0000000051BC: D1CB00D6 075A090E
	v_fma_f32 v215, v15, v4, v215                              // 0000000051C4: D1CB00D7 075E090F
	v_mfma_f32_16x16x32_fp8_fp8 v[12:15], a[184:185], a[88:89], 0// 0000000051CC: D3F3000C 1A02B1B8
	v_mfma_f32_16x16x32_fp8_fp8 v[12:15], a[186:187], a[90:91], v[12:15]// 0000000051D4: D3F3000C 1C32B5BA
	buffer_load_dwordx4 a[172:175], v89, s[24:27], 0 offen offset:1024// 0000000051DC: E05C1400 8086AC59
	v_mfma_f32_16x16x32_fp8_fp8 v[12:15], a[188:189], a[92:93], v[12:15]// 0000000051E4: D3F3000C 1C32B9BC
	v_mfma_f32_16x16x32_fp8_fp8 v[12:15], a[190:191], a[94:95], v[12:15]// 0000000051EC: D3F3000C 1C32BDBE
	ds_read_b128 a[24:27], v2 offset:1536                      // 0000000051F4: DBFE0600 18000002
	ds_read_b128 a[28:31], v2 offset:1600                      // 0000000051FC: DBFE0640 1C000002
	v_fma_f32 v176, v8, v6, v176                               // 000000005204: D1CB00B0 06C20D08
	v_fma_f32 v177, v9, v6, v177                               // 00000000520C: D1CB00B1 06C60D09
	v_fma_f32 v178, v10, v6, v178                              // 000000005214: D1CB00B2 06CA0D0A
	v_fma_f32 v179, v11, v6, v179                              // 00000000521C: D1CB00B3 06CE0D0B
	v_mul_f32_dpp v4, v27, v60 row_newbcast:0 row_mask:0xf bank_mask:0xf// 000000005224: 0A0878FA FF01501B
	v_mfma_f32_16x16x32_fp8_fp8 v[8:11], a[176:177], a[96:97], 0// 00000000522C: D3F30008 1A02C1B0
	v_mfma_f32_16x16x32_fp8_fp8 v[8:11], a[178:179], a[98:99], v[8:11]// 000000005234: D3F30008 1C22C5B2
	v_mfma_f32_16x16x32_fp8_fp8 v[8:11], a[180:181], a[100:101], v[8:11]// 00000000523C: D3F30008 1C22C9B4
	v_mfma_f32_16x16x32_fp8_fp8 v[8:11], a[182:183], a[102:103], v[8:11]// 000000005244: D3F30008 1C22CDB6
	ds_read_b128 a[32:35], v2 offset:2048                      // 00000000524C: DBFE0800 20000002
	ds_read_b128 a[36:39], v2 offset:2112                      // 000000005254: DBFE0840 24000002
	v_fma_f32 v216, v12, v6, v216                              // 00000000525C: D1CB00D8 07620D0C
	v_fma_f32 v217, v13, v6, v217                              // 000000005264: D1CB00D9 07660D0D
	v_fma_f32 v218, v14, v6, v218                              // 00000000526C: D1CB00DA 076A0D0E
	v_fma_f32 v219, v15, v6, v219                              // 000000005274: D1CB00DB 076E0D0F
	v_mfma_f32_16x16x32_fp8_fp8 v[12:15], a[184:185], a[96:97], 0// 00000000527C: D3F3000C 1A02C1B8
	v_mfma_f32_16x16x32_fp8_fp8 v[12:15], a[186:187], a[98:99], v[12:15]// 000000005284: D3F3000C 1C32C5BA
	v_mfma_f32_16x16x32_fp8_fp8 v[12:15], a[188:189], a[100:101], v[12:15]// 00000000528C: D3F3000C 1C32C9BC
	v_mfma_f32_16x16x32_fp8_fp8 v[12:15], a[190:191], a[102:103], v[12:15]// 000000005294: D3F3000C 1C32CDBE
	ds_read_b128 a[40:43], v2 offset:2560                      // 00000000529C: DBFE0A00 28000002
	ds_read_b128 a[44:47], v2 offset:2624                      // 0000000052A4: DBFE0A40 2C000002
	v_fma_f32 v180, v8, v4, v180                               // 0000000052AC: D1CB00B4 06D20908
	v_fma_f32 v181, v9, v4, v181                               // 0000000052B4: D1CB00B5 06D60909
	v_fma_f32 v182, v10, v4, v182                              // 0000000052BC: D1CB00B6 06DA090A
	v_fma_f32 v183, v11, v4, v183                              // 0000000052C4: D1CB00B7 06DE090B
	v_mul_f32_dpp v6, v27, v61 row_newbcast:0 row_mask:0xf bank_mask:0xf// 0000000052CC: 0A0C7AFA FF01501B
	v_mfma_f32_16x16x32_fp8_fp8 v[8:11], a[176:177], a[104:105], 0// 0000000052D4: D3F30008 1A02D1B0
	v_mfma_f32_16x16x32_fp8_fp8 v[8:11], a[178:179], a[106:107], v[8:11]// 0000000052DC: D3F30008 1C22D5B2
	v_mfma_f32_16x16x32_fp8_fp8 v[8:11], a[180:181], a[108:109], v[8:11]// 0000000052E4: D3F30008 1C22D9B4
	v_mfma_f32_16x16x32_fp8_fp8 v[8:11], a[182:183], a[110:111], v[8:11]// 0000000052EC: D3F30008 1C22DDB6
	ds_read_b128 a[48:51], v2 offset:3072                      // 0000000052F4: DBFE0C00 30000002
	ds_read_b128 a[52:55], v2 offset:3136                      // 0000000052FC: DBFE0C40 34000002
	v_fma_f32 v220, v12, v4, v220                              // 000000005304: D1CB00DC 0772090C
	v_fma_f32 v221, v13, v4, v221                              // 00000000530C: D1CB00DD 0776090D
	v_fma_f32 v222, v14, v4, v222                              // 000000005314: D1CB00DE 077A090E
	v_fma_f32 v223, v15, v4, v223                              // 00000000531C: D1CB00DF 077E090F
	v_mfma_f32_16x16x32_fp8_fp8 v[12:15], a[184:185], a[104:105], 0// 000000005324: D3F3000C 1A02D1B8
	v_mfma_f32_16x16x32_fp8_fp8 v[12:15], a[186:187], a[106:107], v[12:15]// 00000000532C: D3F3000C 1C32D5BA
	v_mfma_f32_16x16x32_fp8_fp8 v[12:15], a[188:189], a[108:109], v[12:15]// 000000005334: D3F3000C 1C32D9BC
	v_mfma_f32_16x16x32_fp8_fp8 v[12:15], a[190:191], a[110:111], v[12:15]// 00000000533C: D3F3000C 1C32DDBE
	ds_read_b128 a[56:59], v2 offset:3584                      // 000000005344: DBFE0E00 38000002
	ds_read_b128 a[60:63], v2 offset:3648                      // 00000000534C: DBFE0E40 3C000002
	v_fma_f32 v184, v8, v6, v184                               // 000000005354: D1CB00B8 06E20D08
	v_fma_f32 v185, v9, v6, v185                               // 00000000535C: D1CB00B9 06E60D09
	v_fma_f32 v186, v10, v6, v186                              // 000000005364: D1CB00BA 06EA0D0A
	v_fma_f32 v187, v11, v6, v187                              // 00000000536C: D1CB00BB 06EE0D0B
	v_mul_f32_dpp v4, v27, v62 row_newbcast:0 row_mask:0xf bank_mask:0xf// 000000005374: 0A087CFA FF01501B
	v_mfma_f32_16x16x32_fp8_fp8 v[8:11], a[176:177], a[112:113], 0// 00000000537C: D3F30008 1A02E1B0
	v_mfma_f32_16x16x32_fp8_fp8 v[8:11], a[178:179], a[114:115], v[8:11]// 000000005384: D3F30008 1C22E5B2
	v_mfma_f32_16x16x32_fp8_fp8 v[8:11], a[180:181], a[116:117], v[8:11]// 00000000538C: D3F30008 1C22E9B4
	v_mfma_f32_16x16x32_fp8_fp8 v[8:11], a[182:183], a[118:119], v[8:11]// 000000005394: D3F30008 1C22EDB6
	ds_read_b128 a[64:67], v2 offset:4096                      // 00000000539C: DBFE1000 40000002
	ds_read_b128 a[68:71], v2 offset:4160                      // 0000000053A4: DBFE1040 44000002
	v_fma_f32 v224, v12, v6, v224                              // 0000000053AC: D1CB00E0 07820D0C
	v_fma_f32 v225, v13, v6, v225                              // 0000000053B4: D1CB00E1 07860D0D
	v_fma_f32 v226, v14, v6, v226                              // 0000000053BC: D1CB00E2 078A0D0E
	v_fma_f32 v227, v15, v6, v227                              // 0000000053C4: D1CB00E3 078E0D0F
	v_mfma_f32_16x16x32_fp8_fp8 v[12:15], a[184:185], a[112:113], 0// 0000000053CC: D3F3000C 1A02E1B8
	v_mfma_f32_16x16x32_fp8_fp8 v[12:15], a[186:187], a[114:115], v[12:15]// 0000000053D4: D3F3000C 1C32E5BA
	v_mfma_f32_16x16x32_fp8_fp8 v[12:15], a[188:189], a[116:117], v[12:15]// 0000000053DC: D3F3000C 1C32E9BC
	v_mfma_f32_16x16x32_fp8_fp8 v[12:15], a[190:191], a[118:119], v[12:15]// 0000000053E4: D3F3000C 1C32EDBE
	ds_read_b128 a[72:75], v2 offset:4608                      // 0000000053EC: DBFE1200 48000002
	ds_read_b128 a[76:79], v2 offset:4672                      // 0000000053F4: DBFE1240 4C000002
	v_fma_f32 v188, v8, v4, v188                               // 0000000053FC: D1CB00BC 06F20908
	v_fma_f32 v189, v9, v4, v189                               // 000000005404: D1CB00BD 06F60909
	v_fma_f32 v190, v10, v4, v190                              // 00000000540C: D1CB00BE 06FA090A
	v_fma_f32 v191, v11, v4, v191                              // 000000005414: D1CB00BF 06FE090B
	v_mul_f32_dpp v6, v27, v63 row_newbcast:0 row_mask:0xf bank_mask:0xf// 00000000541C: 0A0C7EFA FF01501B
	v_mfma_f32_16x16x32_fp8_fp8 v[8:11], a[176:177], a[120:121], 0// 000000005424: D3F30008 1A02F1B0
	v_mfma_f32_16x16x32_fp8_fp8 v[8:11], a[178:179], a[122:123], v[8:11]// 00000000542C: D3F30008 1C22F5B2
	v_mfma_f32_16x16x32_fp8_fp8 v[8:11], a[180:181], a[124:125], v[8:11]// 000000005434: D3F30008 1C22F9B4
	v_mfma_f32_16x16x32_fp8_fp8 v[8:11], a[182:183], a[126:127], v[8:11]// 00000000543C: D3F30008 1C22FDB6
	v_fma_f32 v228, v12, v4, v228                              // 000000005444: D1CB00E4 0792090C
	v_fma_f32 v229, v13, v4, v229                              // 00000000544C: D1CB00E5 0796090D
	v_fma_f32 v230, v14, v4, v230                              // 000000005454: D1CB00E6 079A090E
	v_fma_f32 v231, v15, v4, v231                              // 00000000545C: D1CB00E7 079E090F
	v_mfma_f32_16x16x32_fp8_fp8 v[12:15], a[184:185], a[120:121], 0// 000000005464: D3F3000C 1A02F1B8
	v_mfma_f32_16x16x32_fp8_fp8 v[12:15], a[186:187], a[122:123], v[12:15]// 00000000546C: D3F3000C 1C32F5BA
	v_mfma_f32_16x16x32_fp8_fp8 v[12:15], a[188:189], a[124:125], v[12:15]// 000000005474: D3F3000C 1C32F9BC
	v_mfma_f32_16x16x32_fp8_fp8 v[12:15], a[190:191], a[126:127], v[12:15]// 00000000547C: D3F3000C 1C32FDBE
	v_fma_f32 v192, v8, v6, v192                               // 000000005484: D1CB00C0 07020D08
	v_fma_f32 v193, v9, v6, v193                               // 00000000548C: D1CB00C1 07060D09
	v_fma_f32 v194, v10, v6, v194                              // 000000005494: D1CB00C2 070A0D0A
	v_fma_f32 v195, v11, v6, v195                              // 00000000549C: D1CB00C3 070E0D0B
	v_mul_f32_dpp v4, v27, v64 row_newbcast:0 row_mask:0xf bank_mask:0xf// 0000000054A4: 0A0880FA FF01501B
	v_mfma_f32_16x16x32_fp8_fp8 v[8:11], a[176:177], a[128:129], 0// 0000000054AC: D3F30008 1A0301B0
	v_mfma_f32_16x16x32_fp8_fp8 v[8:11], a[178:179], a[130:131], v[8:11]// 0000000054B4: D3F30008 1C2305B2
	v_mfma_f32_16x16x32_fp8_fp8 v[8:11], a[180:181], a[132:133], v[8:11]// 0000000054BC: D3F30008 1C2309B4
	v_mfma_f32_16x16x32_fp8_fp8 v[8:11], a[182:183], a[134:135], v[8:11]// 0000000054C4: D3F30008 1C230DB6
	v_fma_f32 v232, v12, v6, v232                              // 0000000054CC: D1CB00E8 07A20D0C
	v_fma_f32 v233, v13, v6, v233                              // 0000000054D4: D1CB00E9 07A60D0D
	v_fma_f32 v234, v14, v6, v234                              // 0000000054DC: D1CB00EA 07AA0D0E
	v_fma_f32 v235, v15, v6, v235                              // 0000000054E4: D1CB00EB 07AE0D0F
	v_mfma_f32_16x16x32_fp8_fp8 v[12:15], a[184:185], a[128:129], 0// 0000000054EC: D3F3000C 1A0301B8
	v_mfma_f32_16x16x32_fp8_fp8 v[12:15], a[186:187], a[130:131], v[12:15]// 0000000054F4: D3F3000C 1C3305BA
	v_mfma_f32_16x16x32_fp8_fp8 v[12:15], a[188:189], a[132:133], v[12:15]// 0000000054FC: D3F3000C 1C3309BC
	v_mfma_f32_16x16x32_fp8_fp8 v[12:15], a[190:191], a[134:135], v[12:15]// 000000005504: D3F3000C 1C330DBE
	v_fma_f32 v196, v8, v4, v196                               // 00000000550C: D1CB00C4 07120908
	v_fma_f32 v197, v9, v4, v197                               // 000000005514: D1CB00C5 07160909
	v_fma_f32 v198, v10, v4, v198                              // 00000000551C: D1CB00C6 071A090A
	v_fma_f32 v199, v11, v4, v199                              // 000000005524: D1CB00C7 071E090B
	v_mul_f32_dpp v6, v27, v65 row_newbcast:0 row_mask:0xf bank_mask:0xf// 00000000552C: 0A0C82FA FF01501B
	v_mfma_f32_16x16x32_fp8_fp8 v[8:11], a[176:177], a[136:137], 0// 000000005534: D3F30008 1A0311B0
	v_mfma_f32_16x16x32_fp8_fp8 v[8:11], a[178:179], a[138:139], v[8:11]// 00000000553C: D3F30008 1C2315B2
	v_mfma_f32_16x16x32_fp8_fp8 v[8:11], a[180:181], a[140:141], v[8:11]// 000000005544: D3F30008 1C2319B4
	v_mfma_f32_16x16x32_fp8_fp8 v[8:11], a[182:183], a[142:143], v[8:11]// 00000000554C: D3F30008 1C231DB6
	v_fma_f32 v236, v12, v4, v236                              // 000000005554: D1CB00EC 07B2090C
	v_fma_f32 v237, v13, v4, v237                              // 00000000555C: D1CB00ED 07B6090D
	v_fma_f32 v238, v14, v4, v238                              // 000000005564: D1CB00EE 07BA090E
	v_fma_f32 v239, v15, v4, v239                              // 00000000556C: D1CB00EF 07BE090F
	v_mfma_f32_16x16x32_fp8_fp8 v[12:15], a[184:185], a[136:137], 0// 000000005574: D3F3000C 1A0311B8
	v_mfma_f32_16x16x32_fp8_fp8 v[12:15], a[186:187], a[138:139], v[12:15]// 00000000557C: D3F3000C 1C3315BA
	v_mfma_f32_16x16x32_fp8_fp8 v[12:15], a[188:189], a[140:141], v[12:15]// 000000005584: D3F3000C 1C3319BC
	v_mfma_f32_16x16x32_fp8_fp8 v[12:15], a[190:191], a[142:143], v[12:15]// 00000000558C: D3F3000C 1C331DBE
	v_fma_f32 v200, v8, v6, v200                               // 000000005594: D1CB00C8 07220D08
	v_fma_f32 v201, v9, v6, v201                               // 00000000559C: D1CB00C9 07260D09
	v_fma_f32 v202, v10, v6, v202                              // 0000000055A4: D1CB00CA 072A0D0A
	v_fma_f32 v203, v11, v6, v203                              // 0000000055AC: D1CB00CB 072E0D0B
	v_mul_f32_dpp v4, v27, v66 row_newbcast:0 row_mask:0xf bank_mask:0xf// 0000000055B4: 0A0884FA FF01501B
	v_mfma_f32_16x16x32_fp8_fp8 v[8:11], a[176:177], a[144:145], 0// 0000000055BC: D3F30008 1A0321B0
	v_mfma_f32_16x16x32_fp8_fp8 v[8:11], a[178:179], a[146:147], v[8:11]// 0000000055C4: D3F30008 1C2325B2
	v_mfma_f32_16x16x32_fp8_fp8 v[8:11], a[180:181], a[148:149], v[8:11]// 0000000055CC: D3F30008 1C2329B4
	v_mfma_f32_16x16x32_fp8_fp8 v[8:11], a[182:183], a[150:151], v[8:11]// 0000000055D4: D3F30008 1C232DB6
	v_fma_f32 v240, v12, v6, v240                              // 0000000055DC: D1CB00F0 07C20D0C
	v_fma_f32 v241, v13, v6, v241                              // 0000000055E4: D1CB00F1 07C60D0D
	v_fma_f32 v242, v14, v6, v242                              // 0000000055EC: D1CB00F2 07CA0D0E
	v_fma_f32 v243, v15, v6, v243                              // 0000000055F4: D1CB00F3 07CE0D0F
	v_mfma_f32_16x16x32_fp8_fp8 v[12:15], a[184:185], a[144:145], 0// 0000000055FC: D3F3000C 1A0321B8
	v_mfma_f32_16x16x32_fp8_fp8 v[12:15], a[186:187], a[146:147], v[12:15]// 000000005604: D3F3000C 1C3325BA
	v_mfma_f32_16x16x32_fp8_fp8 v[12:15], a[188:189], a[148:149], v[12:15]// 00000000560C: D3F3000C 1C3329BC
	v_mfma_f32_16x16x32_fp8_fp8 v[12:15], a[190:191], a[150:151], v[12:15]// 000000005614: D3F3000C 1C332DBE
	v_fma_f32 v204, v8, v4, v204                               // 00000000561C: D1CB00CC 07320908
	v_fma_f32 v205, v9, v4, v205                               // 000000005624: D1CB00CD 07360909
	v_fma_f32 v206, v10, v4, v206                              // 00000000562C: D1CB00CE 073A090A
	v_fma_f32 v207, v11, v4, v207                              // 000000005634: D1CB00CF 073E090B
	v_mul_f32_dpp v6, v27, v67 row_newbcast:0 row_mask:0xf bank_mask:0xf// 00000000563C: 0A0C86FA FF01501B
	v_mfma_f32_16x16x32_fp8_fp8 v[8:11], a[176:177], a[152:153], 0// 000000005644: D3F30008 1A0331B0
	v_mfma_f32_16x16x32_fp8_fp8 v[8:11], a[178:179], a[154:155], v[8:11]// 00000000564C: D3F30008 1C2335B2
	v_mfma_f32_16x16x32_fp8_fp8 v[8:11], a[180:181], a[156:157], v[8:11]// 000000005654: D3F30008 1C2339B4
	s_add_u32 s60, 0x180, s80                                  // 00000000565C: 803C50FF 00000180
	s_cmp_lt_u32 s60, s81                                      // 000000005664: BF0A513C
	s_cselect_b32 s57, s57, 0                                  // 000000005668: 85398039
	s_cselect_b32 s3, s3, 0                                    // 00000000566C: 85038003
	v_mfma_f32_16x16x32_fp8_fp8 v[8:11], a[182:183], a[158:159], v[8:11]// 000000005670: D3F30008 1C233DB6
	s_add_u32 s60, 0x100, s80                                  // 000000005678: 803C50FF 00000100
	s_cmp_lt_u32 s60, s81                                      // 000000005680: BF0A513C
	s_cselect_b32 s58, s58, 0                                  // 000000005684: 853A803A
	v_fma_f32 v244, v12, v4, v244                              // 000000005688: D1CB00F4 07D2090C
	v_fma_f32 v245, v13, v4, v245                              // 000000005690: D1CB00F5 07D6090D
	v_fma_f32 v246, v14, v4, v246                              // 000000005698: D1CB00F6 07DA090E
	v_fma_f32 v247, v15, v4, v247                              // 0000000056A0: D1CB00F7 07DE090F
	v_mfma_f32_16x16x32_fp8_fp8 v[12:15], a[184:185], a[152:153], 0// 0000000056A8: D3F3000C 1A0331B8
	s_add_u32 s24, s58, s24                                    // 0000000056B0: 8018183A
	s_addc_u32 s25, 0, s25                                     // 0000000056B4: 82191980
	v_mfma_f32_16x16x32_fp8_fp8 v[12:15], a[186:187], a[154:155], v[12:15]// 0000000056B8: D3F3000C 1C3335BA
	s_add_u32 s20, s57, s20                                    // 0000000056C0: 80141439
	s_addc_u32 s21, 0, s21                                     // 0000000056C4: 82151580
	s_add_u32 s28, s3, s28                                     // 0000000056C8: 801C1C03
	s_addc_u32 s29, 0, s29                                     // 0000000056CC: 821D1D80
	v_mfma_f32_16x16x32_fp8_fp8 v[12:15], a[188:189], a[156:157], v[12:15]// 0000000056D0: D3F3000C 1C3339BC
	s_add_u32 s84, s83, s84                                    // 0000000056D8: 80545453
	s_addc_u32 s85, 0, s85                                     // 0000000056DC: 82555580
	v_mfma_f32_16x16x32_fp8_fp8 v[12:15], a[190:191], a[158:159], v[12:15]// 0000000056E0: D3F3000C 1C333DBE
	v_fma_f32 v208, v8, v6, v208                               // 0000000056E8: D1CB00D0 07420D08
	v_fma_f32 v209, v9, v6, v209                               // 0000000056F0: D1CB00D1 07460D09
	v_fma_f32 v210, v10, v6, v210                              // 0000000056F8: D1CB00D2 074A0D0A
	v_fma_f32 v211, v11, v6, v211                              // 000000005700: D1CB00D3 074E0D0B
	v_fma_f32 v248, v12, v6, v248                              // 000000005708: D1CB00F8 07E20D0C
	v_fma_f32 v249, v13, v6, v249                              // 000000005710: D1CB00F9 07E60D0D
	v_fma_f32 v250, v14, v6, v250                              // 000000005718: D1CB00FA 07EA0D0E
	v_fma_f32 v251, v15, v6, v251                              // 000000005720: D1CB00FB 07EE0D0F
	s_addk_i32 s80, 0x80                                       // 000000005728: B7500080
	s_cmp_lt_i32 s80, s81                                      // 00000000572C: BF045150
	s_cbranch_scc0 label_0B4E                                  // 000000005730: BF840001
	s_branch label_0445                                        // 000000005734: BF82F8F7

0000000000005738 <label_0B4E>:
	s_cmp_eq_u32 s88, 0                                        // 000000005738: BF068058
	s_cbranch_scc0 label_189D                                  // 00000000573C: BF840D4D
	s_cmp_eq_u32 s89, 0                                        // 000000005740: BF068059
	s_cbranch_scc1 label_0E77                                  // 000000005744: BF850325
	v_mov_b32_e32 v8, v1                                       // 000000005748: 7E100301
	v_mov_b32_e32 v9, v1                                       // 00000000574C: 7E120301
	s_mov_b32 s60, s6                                          // 000000005750: BEBC0006
	s_mov_b32 s61, s6                                          // 000000005754: BEBD0006
	v_pk_mul_f32 v[4:5], v[92:93], v[92:93]                    // 000000005758: D3B14004 1802B95C
	v_pk_mul_f32 v[6:7], v[94:95], v[94:95]                    // 000000005760: D3B14006 1802BD5E
	v_pk_fma_f32 v[4:5], v[4:5], s[78:79], v[8:9]              // 000000005768: D3B04004 1C209D04
	v_pk_fma_f32 v[6:7], v[6:7], s[78:79], v[8:9]              // 000000005770: D3B04006 1C209D06
	v_pk_mul_f32 v[4:5], v[4:5], v[92:93]                      // 000000005778: D3B14004 1802B904
	v_pk_mul_f32 v[6:7], v[6:7], v[94:95]                      // 000000005780: D3B14006 1802BD06
	v_pk_mul_f32 v[4:5], v[4:5], s[60:61]                      // 000000005788: D3B14004 18007904
	v_pk_mul_f32 v[6:7], v[6:7], s[60:61]                      // 000000005790: D3B14006 18007906
	v_exp_f32_e32 v4, v4                                       // 000000005798: 7E084104
	v_exp_f32_e32 v5, v5                                       // 00000000579C: 7E0A4105
	v_exp_f32_e32 v6, v6                                       // 0000000057A0: 7E0C4106
	v_exp_f32_e32 v7, v7                                       // 0000000057A4: 7E0E4107
	v_add_f32_e64 v4, v4, 1.0                                  // 0000000057A8: D1010004 0001E504
	v_add_f32_e64 v5, v5, 1.0                                  // 0000000057B0: D1010005 0001E505
	v_add_f32_e64 v6, v6, 1.0                                  // 0000000057B8: D1010006 0001E506
	v_add_f32_e64 v7, v7, 1.0                                  // 0000000057C0: D1010007 0001E507
	v_rcp_f32_e32 v4, v4                                       // 0000000057C8: 7E084504
	v_rcp_f32_e32 v5, v5                                       // 0000000057CC: 7E0A4505
	v_rcp_f32_e32 v6, v6                                       // 0000000057D0: 7E0C4506
	v_rcp_f32_e32 v7, v7                                       // 0000000057D4: 7E0E4507
	v_mul_f32_e32 v92, v92, v4                                 // 0000000057D8: 0AB8095C
	v_mul_f32_e32 v93, v93, v5                                 // 0000000057DC: 0ABA0B5D
	v_mul_f32_e32 v94, v94, v6                                 // 0000000057E0: 0ABC0D5E
	v_mul_f32_e32 v95, v95, v7                                 // 0000000057E4: 0ABE0F5F
	v_mul_f32_e32 v92, v92, v172                               // 0000000057E8: 0AB9595C
	v_mul_f32_e32 v93, v93, v173                               // 0000000057EC: 0ABB5B5D
	v_mul_f32_e32 v94, v94, v174                               // 0000000057F0: 0ABD5D5E
	v_mul_f32_e32 v95, v95, v175                               // 0000000057F4: 0ABF5F5F
	v_pk_mul_f32 v[4:5], v[96:97], v[96:97]                    // 0000000057F8: D3B14004 1802C160
	v_pk_mul_f32 v[6:7], v[98:99], v[98:99]                    // 000000005800: D3B14006 1802C562
	v_pk_fma_f32 v[4:5], v[4:5], s[78:79], v[8:9]              // 000000005808: D3B04004 1C209D04
	v_pk_fma_f32 v[6:7], v[6:7], s[78:79], v[8:9]              // 000000005810: D3B04006 1C209D06
	v_pk_mul_f32 v[4:5], v[4:5], v[96:97]                      // 000000005818: D3B14004 1802C104
	v_pk_mul_f32 v[6:7], v[6:7], v[98:99]                      // 000000005820: D3B14006 1802C506
	v_pk_mul_f32 v[4:5], v[4:5], s[60:61]                      // 000000005828: D3B14004 18007904
	v_pk_mul_f32 v[6:7], v[6:7], s[60:61]                      // 000000005830: D3B14006 18007906
	v_exp_f32_e32 v4, v4                                       // 000000005838: 7E084104
	v_exp_f32_e32 v5, v5                                       // 00000000583C: 7E0A4105
	v_exp_f32_e32 v6, v6                                       // 000000005840: 7E0C4106
	v_exp_f32_e32 v7, v7                                       // 000000005844: 7E0E4107
	v_add_f32_e64 v4, v4, 1.0                                  // 000000005848: D1010004 0001E504
	v_add_f32_e64 v5, v5, 1.0                                  // 000000005850: D1010005 0001E505
	v_add_f32_e64 v6, v6, 1.0                                  // 000000005858: D1010006 0001E506
	v_add_f32_e64 v7, v7, 1.0                                  // 000000005860: D1010007 0001E507
	v_rcp_f32_e32 v4, v4                                       // 000000005868: 7E084504
	v_rcp_f32_e32 v5, v5                                       // 00000000586C: 7E0A4505
	v_rcp_f32_e32 v6, v6                                       // 000000005870: 7E0C4506
	v_rcp_f32_e32 v7, v7                                       // 000000005874: 7E0E4507
	v_mul_f32_e32 v96, v96, v4                                 // 000000005878: 0AC00960
	v_mul_f32_e32 v97, v97, v5                                 // 00000000587C: 0AC20B61
	v_mul_f32_e32 v98, v98, v6                                 // 000000005880: 0AC40D62
	v_mul_f32_e32 v99, v99, v7                                 // 000000005884: 0AC60F63
	v_mul_f32_e32 v96, v96, v176                               // 000000005888: 0AC16160
	v_mul_f32_e32 v97, v97, v177                               // 00000000588C: 0AC36361
	v_mul_f32_e32 v98, v98, v178                               // 000000005890: 0AC56562
	v_mul_f32_e32 v99, v99, v179                               // 000000005894: 0AC76763
	v_pk_mul_f32 v[4:5], v[100:101], v[100:101]                // 000000005898: D3B14004 1802C964
	v_pk_mul_f32 v[6:7], v[102:103], v[102:103]                // 0000000058A0: D3B14006 1802CD66
	v_pk_fma_f32 v[4:5], v[4:5], s[78:79], v[8:9]              // 0000000058A8: D3B04004 1C209D04
	v_pk_fma_f32 v[6:7], v[6:7], s[78:79], v[8:9]              // 0000000058B0: D3B04006 1C209D06
	v_pk_mul_f32 v[4:5], v[4:5], v[100:101]                    // 0000000058B8: D3B14004 1802C904
	v_pk_mul_f32 v[6:7], v[6:7], v[102:103]                    // 0000000058C0: D3B14006 1802CD06
	v_pk_mul_f32 v[4:5], v[4:5], s[60:61]                      // 0000000058C8: D3B14004 18007904
	v_pk_mul_f32 v[6:7], v[6:7], s[60:61]                      // 0000000058D0: D3B14006 18007906
	v_exp_f32_e32 v4, v4                                       // 0000000058D8: 7E084104
	v_exp_f32_e32 v5, v5                                       // 0000000058DC: 7E0A4105
	v_exp_f32_e32 v6, v6                                       // 0000000058E0: 7E0C4106
	v_exp_f32_e32 v7, v7                                       // 0000000058E4: 7E0E4107
	v_add_f32_e64 v4, v4, 1.0                                  // 0000000058E8: D1010004 0001E504
	v_add_f32_e64 v5, v5, 1.0                                  // 0000000058F0: D1010005 0001E505
	v_add_f32_e64 v6, v6, 1.0                                  // 0000000058F8: D1010006 0001E506
	v_add_f32_e64 v7, v7, 1.0                                  // 000000005900: D1010007 0001E507
	v_rcp_f32_e32 v4, v4                                       // 000000005908: 7E084504
	v_rcp_f32_e32 v5, v5                                       // 00000000590C: 7E0A4505
	v_rcp_f32_e32 v6, v6                                       // 000000005910: 7E0C4506
	v_rcp_f32_e32 v7, v7                                       // 000000005914: 7E0E4507
	v_mul_f32_e32 v100, v100, v4                               // 000000005918: 0AC80964
	v_mul_f32_e32 v101, v101, v5                               // 00000000591C: 0ACA0B65
	v_mul_f32_e32 v102, v102, v6                               // 000000005920: 0ACC0D66
	v_mul_f32_e32 v103, v103, v7                               // 000000005924: 0ACE0F67
	v_mul_f32_e32 v100, v100, v180                             // 000000005928: 0AC96964
	v_mul_f32_e32 v101, v101, v181                             // 00000000592C: 0ACB6B65
	v_mul_f32_e32 v102, v102, v182                             // 000000005930: 0ACD6D66
	v_mul_f32_e32 v103, v103, v183                             // 000000005934: 0ACF6F67
	v_pk_mul_f32 v[4:5], v[104:105], v[104:105]                // 000000005938: D3B14004 1802D168
	v_pk_mul_f32 v[6:7], v[106:107], v[106:107]                // 000000005940: D3B14006 1802D56A
	v_pk_fma_f32 v[4:5], v[4:5], s[78:79], v[8:9]              // 000000005948: D3B04004 1C209D04
	v_pk_fma_f32 v[6:7], v[6:7], s[78:79], v[8:9]              // 000000005950: D3B04006 1C209D06
	v_pk_mul_f32 v[4:5], v[4:5], v[104:105]                    // 000000005958: D3B14004 1802D104
	v_pk_mul_f32 v[6:7], v[6:7], v[106:107]                    // 000000005960: D3B14006 1802D506
	v_pk_mul_f32 v[4:5], v[4:5], s[60:61]                      // 000000005968: D3B14004 18007904
	v_pk_mul_f32 v[6:7], v[6:7], s[60:61]                      // 000000005970: D3B14006 18007906
	v_exp_f32_e32 v4, v4                                       // 000000005978: 7E084104
	v_exp_f32_e32 v5, v5                                       // 00000000597C: 7E0A4105
	v_exp_f32_e32 v6, v6                                       // 000000005980: 7E0C4106
	v_exp_f32_e32 v7, v7                                       // 000000005984: 7E0E4107
	v_add_f32_e64 v4, v4, 1.0                                  // 000000005988: D1010004 0001E504
	v_add_f32_e64 v5, v5, 1.0                                  // 000000005990: D1010005 0001E505
	v_add_f32_e64 v6, v6, 1.0                                  // 000000005998: D1010006 0001E506
	v_add_f32_e64 v7, v7, 1.0                                  // 0000000059A0: D1010007 0001E507
	v_rcp_f32_e32 v4, v4                                       // 0000000059A8: 7E084504
	v_rcp_f32_e32 v5, v5                                       // 0000000059AC: 7E0A4505
	v_rcp_f32_e32 v6, v6                                       // 0000000059B0: 7E0C4506
	v_rcp_f32_e32 v7, v7                                       // 0000000059B4: 7E0E4507
	v_mul_f32_e32 v104, v104, v4                               // 0000000059B8: 0AD00968
	v_mul_f32_e32 v105, v105, v5                               // 0000000059BC: 0AD20B69
	v_mul_f32_e32 v106, v106, v6                               // 0000000059C0: 0AD40D6A
	v_mul_f32_e32 v107, v107, v7                               // 0000000059C4: 0AD60F6B
	v_mul_f32_e32 v104, v104, v184                             // 0000000059C8: 0AD17168
	v_mul_f32_e32 v105, v105, v185                             // 0000000059CC: 0AD37369
	v_mul_f32_e32 v106, v106, v186                             // 0000000059D0: 0AD5756A
	v_mul_f32_e32 v107, v107, v187                             // 0000000059D4: 0AD7776B
	v_pk_mul_f32 v[4:5], v[108:109], v[108:109]                // 0000000059D8: D3B14004 1802D96C
	v_pk_mul_f32 v[6:7], v[110:111], v[110:111]                // 0000000059E0: D3B14006 1802DD6E
	v_pk_fma_f32 v[4:5], v[4:5], s[78:79], v[8:9]              // 0000000059E8: D3B04004 1C209D04
	v_pk_fma_f32 v[6:7], v[6:7], s[78:79], v[8:9]              // 0000000059F0: D3B04006 1C209D06
	v_pk_mul_f32 v[4:5], v[4:5], v[108:109]                    // 0000000059F8: D3B14004 1802D904
	v_pk_mul_f32 v[6:7], v[6:7], v[110:111]                    // 000000005A00: D3B14006 1802DD06
	v_pk_mul_f32 v[4:5], v[4:5], s[60:61]                      // 000000005A08: D3B14004 18007904
	v_pk_mul_f32 v[6:7], v[6:7], s[60:61]                      // 000000005A10: D3B14006 18007906
	v_exp_f32_e32 v4, v4                                       // 000000005A18: 7E084104
	v_exp_f32_e32 v5, v5                                       // 000000005A1C: 7E0A4105
	v_exp_f32_e32 v6, v6                                       // 000000005A20: 7E0C4106
	v_exp_f32_e32 v7, v7                                       // 000000005A24: 7E0E4107
	v_add_f32_e64 v4, v4, 1.0                                  // 000000005A28: D1010004 0001E504
	v_add_f32_e64 v5, v5, 1.0                                  // 000000005A30: D1010005 0001E505
	v_add_f32_e64 v6, v6, 1.0                                  // 000000005A38: D1010006 0001E506
	v_add_f32_e64 v7, v7, 1.0                                  // 000000005A40: D1010007 0001E507
	v_rcp_f32_e32 v4, v4                                       // 000000005A48: 7E084504
	v_rcp_f32_e32 v5, v5                                       // 000000005A4C: 7E0A4505
	v_rcp_f32_e32 v6, v6                                       // 000000005A50: 7E0C4506
	v_rcp_f32_e32 v7, v7                                       // 000000005A54: 7E0E4507
	v_mul_f32_e32 v108, v108, v4                               // 000000005A58: 0AD8096C
	v_mul_f32_e32 v109, v109, v5                               // 000000005A5C: 0ADA0B6D
	v_mul_f32_e32 v110, v110, v6                               // 000000005A60: 0ADC0D6E
	v_mul_f32_e32 v111, v111, v7                               // 000000005A64: 0ADE0F6F
	v_mul_f32_e32 v108, v108, v188                             // 000000005A68: 0AD9796C
	v_mul_f32_e32 v109, v109, v189                             // 000000005A6C: 0ADB7B6D
	v_mul_f32_e32 v110, v110, v190                             // 000000005A70: 0ADD7D6E
	v_mul_f32_e32 v111, v111, v191                             // 000000005A74: 0ADF7F6F
	v_pk_mul_f32 v[4:5], v[112:113], v[112:113]                // 000000005A78: D3B14004 1802E170
	v_pk_mul_f32 v[6:7], v[114:115], v[114:115]                // 000000005A80: D3B14006 1802E572
	v_pk_fma_f32 v[4:5], v[4:5], s[78:79], v[8:9]              // 000000005A88: D3B04004 1C209D04
	v_pk_fma_f32 v[6:7], v[6:7], s[78:79], v[8:9]              // 000000005A90: D3B04006 1C209D06
	v_pk_mul_f32 v[4:5], v[4:5], v[112:113]                    // 000000005A98: D3B14004 1802E104
	v_pk_mul_f32 v[6:7], v[6:7], v[114:115]                    // 000000005AA0: D3B14006 1802E506
	v_pk_mul_f32 v[4:5], v[4:5], s[60:61]                      // 000000005AA8: D3B14004 18007904
	v_pk_mul_f32 v[6:7], v[6:7], s[60:61]                      // 000000005AB0: D3B14006 18007906
	v_exp_f32_e32 v4, v4                                       // 000000005AB8: 7E084104
	v_exp_f32_e32 v5, v5                                       // 000000005ABC: 7E0A4105
	v_exp_f32_e32 v6, v6                                       // 000000005AC0: 7E0C4106
	v_exp_f32_e32 v7, v7                                       // 000000005AC4: 7E0E4107
	v_add_f32_e64 v4, v4, 1.0                                  // 000000005AC8: D1010004 0001E504
	v_add_f32_e64 v5, v5, 1.0                                  // 000000005AD0: D1010005 0001E505
	v_add_f32_e64 v6, v6, 1.0                                  // 000000005AD8: D1010006 0001E506
	v_add_f32_e64 v7, v7, 1.0                                  // 000000005AE0: D1010007 0001E507
	v_rcp_f32_e32 v4, v4                                       // 000000005AE8: 7E084504
	v_rcp_f32_e32 v5, v5                                       // 000000005AEC: 7E0A4505
	v_rcp_f32_e32 v6, v6                                       // 000000005AF0: 7E0C4506
	v_rcp_f32_e32 v7, v7                                       // 000000005AF4: 7E0E4507
	v_mul_f32_e32 v112, v112, v4                               // 000000005AF8: 0AE00970
	v_mul_f32_e32 v113, v113, v5                               // 000000005AFC: 0AE20B71
	v_mul_f32_e32 v114, v114, v6                               // 000000005B00: 0AE40D72
	v_mul_f32_e32 v115, v115, v7                               // 000000005B04: 0AE60F73
	v_mul_f32_e32 v112, v112, v192                             // 000000005B08: 0AE18170
	v_mul_f32_e32 v113, v113, v193                             // 000000005B0C: 0AE38371
	v_mul_f32_e32 v114, v114, v194                             // 000000005B10: 0AE58572
	v_mul_f32_e32 v115, v115, v195                             // 000000005B14: 0AE78773
	v_pk_mul_f32 v[4:5], v[116:117], v[116:117]                // 000000005B18: D3B14004 1802E974
	v_pk_mul_f32 v[6:7], v[118:119], v[118:119]                // 000000005B20: D3B14006 1802ED76
	v_pk_fma_f32 v[4:5], v[4:5], s[78:79], v[8:9]              // 000000005B28: D3B04004 1C209D04
	v_pk_fma_f32 v[6:7], v[6:7], s[78:79], v[8:9]              // 000000005B30: D3B04006 1C209D06
	v_pk_mul_f32 v[4:5], v[4:5], v[116:117]                    // 000000005B38: D3B14004 1802E904
	v_pk_mul_f32 v[6:7], v[6:7], v[118:119]                    // 000000005B40: D3B14006 1802ED06
	v_pk_mul_f32 v[4:5], v[4:5], s[60:61]                      // 000000005B48: D3B14004 18007904
	v_pk_mul_f32 v[6:7], v[6:7], s[60:61]                      // 000000005B50: D3B14006 18007906
	v_exp_f32_e32 v4, v4                                       // 000000005B58: 7E084104
	v_exp_f32_e32 v5, v5                                       // 000000005B5C: 7E0A4105
	v_exp_f32_e32 v6, v6                                       // 000000005B60: 7E0C4106
	v_exp_f32_e32 v7, v7                                       // 000000005B64: 7E0E4107
	v_add_f32_e64 v4, v4, 1.0                                  // 000000005B68: D1010004 0001E504
	v_add_f32_e64 v5, v5, 1.0                                  // 000000005B70: D1010005 0001E505
	v_add_f32_e64 v6, v6, 1.0                                  // 000000005B78: D1010006 0001E506
	v_add_f32_e64 v7, v7, 1.0                                  // 000000005B80: D1010007 0001E507
	v_rcp_f32_e32 v4, v4                                       // 000000005B88: 7E084504
	v_rcp_f32_e32 v5, v5                                       // 000000005B8C: 7E0A4505
	v_rcp_f32_e32 v6, v6                                       // 000000005B90: 7E0C4506
	v_rcp_f32_e32 v7, v7                                       // 000000005B94: 7E0E4507
	v_mul_f32_e32 v116, v116, v4                               // 000000005B98: 0AE80974
	v_mul_f32_e32 v117, v117, v5                               // 000000005B9C: 0AEA0B75
	v_mul_f32_e32 v118, v118, v6                               // 000000005BA0: 0AEC0D76
	v_mul_f32_e32 v119, v119, v7                               // 000000005BA4: 0AEE0F77
	v_mul_f32_e32 v116, v116, v196                             // 000000005BA8: 0AE98974
	v_mul_f32_e32 v117, v117, v197                             // 000000005BAC: 0AEB8B75
	v_mul_f32_e32 v118, v118, v198                             // 000000005BB0: 0AED8D76
	v_mul_f32_e32 v119, v119, v199                             // 000000005BB4: 0AEF8F77
	v_pk_mul_f32 v[4:5], v[120:121], v[120:121]                // 000000005BB8: D3B14004 1802F178
	v_pk_mul_f32 v[6:7], v[122:123], v[122:123]                // 000000005BC0: D3B14006 1802F57A
	v_pk_fma_f32 v[4:5], v[4:5], s[78:79], v[8:9]              // 000000005BC8: D3B04004 1C209D04
	v_pk_fma_f32 v[6:7], v[6:7], s[78:79], v[8:9]              // 000000005BD0: D3B04006 1C209D06
	v_pk_mul_f32 v[4:5], v[4:5], v[120:121]                    // 000000005BD8: D3B14004 1802F104
	v_pk_mul_f32 v[6:7], v[6:7], v[122:123]                    // 000000005BE0: D3B14006 1802F506
	v_pk_mul_f32 v[4:5], v[4:5], s[60:61]                      // 000000005BE8: D3B14004 18007904
	v_pk_mul_f32 v[6:7], v[6:7], s[60:61]                      // 000000005BF0: D3B14006 18007906
	v_exp_f32_e32 v4, v4                                       // 000000005BF8: 7E084104
	v_exp_f32_e32 v5, v5                                       // 000000005BFC: 7E0A4105
	v_exp_f32_e32 v6, v6                                       // 000000005C00: 7E0C4106
	v_exp_f32_e32 v7, v7                                       // 000000005C04: 7E0E4107
	v_add_f32_e64 v4, v4, 1.0                                  // 000000005C08: D1010004 0001E504
	v_add_f32_e64 v5, v5, 1.0                                  // 000000005C10: D1010005 0001E505
	v_add_f32_e64 v6, v6, 1.0                                  // 000000005C18: D1010006 0001E506
	v_add_f32_e64 v7, v7, 1.0                                  // 000000005C20: D1010007 0001E507
	v_rcp_f32_e32 v4, v4                                       // 000000005C28: 7E084504
	v_rcp_f32_e32 v5, v5                                       // 000000005C2C: 7E0A4505
	v_rcp_f32_e32 v6, v6                                       // 000000005C30: 7E0C4506
	v_rcp_f32_e32 v7, v7                                       // 000000005C34: 7E0E4507
	v_mul_f32_e32 v120, v120, v4                               // 000000005C38: 0AF00978
	v_mul_f32_e32 v121, v121, v5                               // 000000005C3C: 0AF20B79
	v_mul_f32_e32 v122, v122, v6                               // 000000005C40: 0AF40D7A
	v_mul_f32_e32 v123, v123, v7                               // 000000005C44: 0AF60F7B
	v_mul_f32_e32 v120, v120, v200                             // 000000005C48: 0AF19178
	v_mul_f32_e32 v121, v121, v201                             // 000000005C4C: 0AF39379
	v_mul_f32_e32 v122, v122, v202                             // 000000005C50: 0AF5957A
	v_mul_f32_e32 v123, v123, v203                             // 000000005C54: 0AF7977B
	v_pk_mul_f32 v[4:5], v[124:125], v[124:125]                // 000000005C58: D3B14004 1802F97C
	v_pk_mul_f32 v[6:7], v[126:127], v[126:127]                // 000000005C60: D3B14006 1802FD7E
	v_pk_fma_f32 v[4:5], v[4:5], s[78:79], v[8:9]              // 000000005C68: D3B04004 1C209D04
	v_pk_fma_f32 v[6:7], v[6:7], s[78:79], v[8:9]              // 000000005C70: D3B04006 1C209D06
	v_pk_mul_f32 v[4:5], v[4:5], v[124:125]                    // 000000005C78: D3B14004 1802F904
	v_pk_mul_f32 v[6:7], v[6:7], v[126:127]                    // 000000005C80: D3B14006 1802FD06
	v_pk_mul_f32 v[4:5], v[4:5], s[60:61]                      // 000000005C88: D3B14004 18007904
	v_pk_mul_f32 v[6:7], v[6:7], s[60:61]                      // 000000005C90: D3B14006 18007906
	v_exp_f32_e32 v4, v4                                       // 000000005C98: 7E084104
	v_exp_f32_e32 v5, v5                                       // 000000005C9C: 7E0A4105
	v_exp_f32_e32 v6, v6                                       // 000000005CA0: 7E0C4106
	v_exp_f32_e32 v7, v7                                       // 000000005CA4: 7E0E4107
	v_add_f32_e64 v4, v4, 1.0                                  // 000000005CA8: D1010004 0001E504
	v_add_f32_e64 v5, v5, 1.0                                  // 000000005CB0: D1010005 0001E505
	v_add_f32_e64 v6, v6, 1.0                                  // 000000005CB8: D1010006 0001E506
	v_add_f32_e64 v7, v7, 1.0                                  // 000000005CC0: D1010007 0001E507
	v_rcp_f32_e32 v4, v4                                       // 000000005CC8: 7E084504
	v_rcp_f32_e32 v5, v5                                       // 000000005CCC: 7E0A4505
	v_rcp_f32_e32 v6, v6                                       // 000000005CD0: 7E0C4506
	v_rcp_f32_e32 v7, v7                                       // 000000005CD4: 7E0E4507
	v_mul_f32_e32 v124, v124, v4                               // 000000005CD8: 0AF8097C
	v_mul_f32_e32 v125, v125, v5                               // 000000005CDC: 0AFA0B7D
	v_mul_f32_e32 v126, v126, v6                               // 000000005CE0: 0AFC0D7E
	v_mul_f32_e32 v127, v127, v7                               // 000000005CE4: 0AFE0F7F
	v_mul_f32_e32 v124, v124, v204                             // 000000005CE8: 0AF9997C
	v_mul_f32_e32 v125, v125, v205                             // 000000005CEC: 0AFB9B7D
	v_mul_f32_e32 v126, v126, v206                             // 000000005CF0: 0AFD9D7E
	v_mul_f32_e32 v127, v127, v207                             // 000000005CF4: 0AFF9F7F
	v_pk_mul_f32 v[4:5], v[128:129], v[128:129]                // 000000005CF8: D3B14004 18030180
	v_pk_mul_f32 v[6:7], v[130:131], v[130:131]                // 000000005D00: D3B14006 18030582
	v_pk_fma_f32 v[4:5], v[4:5], s[78:79], v[8:9]              // 000000005D08: D3B04004 1C209D04
	v_pk_fma_f32 v[6:7], v[6:7], s[78:79], v[8:9]              // 000000005D10: D3B04006 1C209D06
	v_pk_mul_f32 v[4:5], v[4:5], v[128:129]                    // 000000005D18: D3B14004 18030104
	v_pk_mul_f32 v[6:7], v[6:7], v[130:131]                    // 000000005D20: D3B14006 18030506
	v_pk_mul_f32 v[4:5], v[4:5], s[60:61]                      // 000000005D28: D3B14004 18007904
	v_pk_mul_f32 v[6:7], v[6:7], s[60:61]                      // 000000005D30: D3B14006 18007906
	v_exp_f32_e32 v4, v4                                       // 000000005D38: 7E084104
	v_exp_f32_e32 v5, v5                                       // 000000005D3C: 7E0A4105
	v_exp_f32_e32 v6, v6                                       // 000000005D40: 7E0C4106
	v_exp_f32_e32 v7, v7                                       // 000000005D44: 7E0E4107
	v_add_f32_e64 v4, v4, 1.0                                  // 000000005D48: D1010004 0001E504
	v_add_f32_e64 v5, v5, 1.0                                  // 000000005D50: D1010005 0001E505
	v_add_f32_e64 v6, v6, 1.0                                  // 000000005D58: D1010006 0001E506
	v_add_f32_e64 v7, v7, 1.0                                  // 000000005D60: D1010007 0001E507
	v_rcp_f32_e32 v4, v4                                       // 000000005D68: 7E084504
	v_rcp_f32_e32 v5, v5                                       // 000000005D6C: 7E0A4505
	v_rcp_f32_e32 v6, v6                                       // 000000005D70: 7E0C4506
	v_rcp_f32_e32 v7, v7                                       // 000000005D74: 7E0E4507
	v_mul_f32_e32 v128, v128, v4                               // 000000005D78: 0B000980
	v_mul_f32_e32 v129, v129, v5                               // 000000005D7C: 0B020B81
	v_mul_f32_e32 v130, v130, v6                               // 000000005D80: 0B040D82
	v_mul_f32_e32 v131, v131, v7                               // 000000005D84: 0B060F83
	v_mul_f32_e32 v128, v128, v208                             // 000000005D88: 0B01A180
	v_mul_f32_e32 v129, v129, v209                             // 000000005D8C: 0B03A381
	v_mul_f32_e32 v130, v130, v210                             // 000000005D90: 0B05A582
	v_mul_f32_e32 v131, v131, v211                             // 000000005D94: 0B07A783
	v_pk_mul_f32 v[4:5], v[132:133], v[132:133]                // 000000005D98: D3B14004 18030984
	v_pk_mul_f32 v[6:7], v[134:135], v[134:135]                // 000000005DA0: D3B14006 18030D86
	v_pk_fma_f32 v[4:5], v[4:5], s[78:79], v[8:9]              // 000000005DA8: D3B04004 1C209D04
	v_pk_fma_f32 v[6:7], v[6:7], s[78:79], v[8:9]              // 000000005DB0: D3B04006 1C209D06
	v_pk_mul_f32 v[4:5], v[4:5], v[132:133]                    // 000000005DB8: D3B14004 18030904
	v_pk_mul_f32 v[6:7], v[6:7], v[134:135]                    // 000000005DC0: D3B14006 18030D06
	v_pk_mul_f32 v[4:5], v[4:5], s[60:61]                      // 000000005DC8: D3B14004 18007904
	v_pk_mul_f32 v[6:7], v[6:7], s[60:61]                      // 000000005DD0: D3B14006 18007906
	v_exp_f32_e32 v4, v4                                       // 000000005DD8: 7E084104
	v_exp_f32_e32 v5, v5                                       // 000000005DDC: 7E0A4105
	v_exp_f32_e32 v6, v6                                       // 000000005DE0: 7E0C4106
	v_exp_f32_e32 v7, v7                                       // 000000005DE4: 7E0E4107
	v_add_f32_e64 v4, v4, 1.0                                  // 000000005DE8: D1010004 0001E504
	v_add_f32_e64 v5, v5, 1.0                                  // 000000005DF0: D1010005 0001E505
	v_add_f32_e64 v6, v6, 1.0                                  // 000000005DF8: D1010006 0001E506
	v_add_f32_e64 v7, v7, 1.0                                  // 000000005E00: D1010007 0001E507
	v_rcp_f32_e32 v4, v4                                       // 000000005E08: 7E084504
	v_rcp_f32_e32 v5, v5                                       // 000000005E0C: 7E0A4505
	v_rcp_f32_e32 v6, v6                                       // 000000005E10: 7E0C4506
	v_rcp_f32_e32 v7, v7                                       // 000000005E14: 7E0E4507
	v_mul_f32_e32 v132, v132, v4                               // 000000005E18: 0B080984
	v_mul_f32_e32 v133, v133, v5                               // 000000005E1C: 0B0A0B85
	v_mul_f32_e32 v134, v134, v6                               // 000000005E20: 0B0C0D86
	v_mul_f32_e32 v135, v135, v7                               // 000000005E24: 0B0E0F87
	v_mul_f32_e32 v132, v132, v212                             // 000000005E28: 0B09A984
	v_mul_f32_e32 v133, v133, v213                             // 000000005E2C: 0B0BAB85
	v_mul_f32_e32 v134, v134, v214                             // 000000005E30: 0B0DAD86
	v_mul_f32_e32 v135, v135, v215                             // 000000005E34: 0B0FAF87
	v_pk_mul_f32 v[4:5], v[136:137], v[136:137]                // 000000005E38: D3B14004 18031188
	v_pk_mul_f32 v[6:7], v[138:139], v[138:139]                // 000000005E40: D3B14006 1803158A
	v_pk_fma_f32 v[4:5], v[4:5], s[78:79], v[8:9]              // 000000005E48: D3B04004 1C209D04
	v_pk_fma_f32 v[6:7], v[6:7], s[78:79], v[8:9]              // 000000005E50: D3B04006 1C209D06
	v_pk_mul_f32 v[4:5], v[4:5], v[136:137]                    // 000000005E58: D3B14004 18031104
	v_pk_mul_f32 v[6:7], v[6:7], v[138:139]                    // 000000005E60: D3B14006 18031506
	v_pk_mul_f32 v[4:5], v[4:5], s[60:61]                      // 000000005E68: D3B14004 18007904
	v_pk_mul_f32 v[6:7], v[6:7], s[60:61]                      // 000000005E70: D3B14006 18007906
	v_exp_f32_e32 v4, v4                                       // 000000005E78: 7E084104
	v_exp_f32_e32 v5, v5                                       // 000000005E7C: 7E0A4105
	v_exp_f32_e32 v6, v6                                       // 000000005E80: 7E0C4106
	v_exp_f32_e32 v7, v7                                       // 000000005E84: 7E0E4107
	v_add_f32_e64 v4, v4, 1.0                                  // 000000005E88: D1010004 0001E504
	v_add_f32_e64 v5, v5, 1.0                                  // 000000005E90: D1010005 0001E505
	v_add_f32_e64 v6, v6, 1.0                                  // 000000005E98: D1010006 0001E506
	v_add_f32_e64 v7, v7, 1.0                                  // 000000005EA0: D1010007 0001E507
	v_rcp_f32_e32 v4, v4                                       // 000000005EA8: 7E084504
	v_rcp_f32_e32 v5, v5                                       // 000000005EAC: 7E0A4505
	v_rcp_f32_e32 v6, v6                                       // 000000005EB0: 7E0C4506
	v_rcp_f32_e32 v7, v7                                       // 000000005EB4: 7E0E4507
	v_mul_f32_e32 v136, v136, v4                               // 000000005EB8: 0B100988
	v_mul_f32_e32 v137, v137, v5                               // 000000005EBC: 0B120B89
	v_mul_f32_e32 v138, v138, v6                               // 000000005EC0: 0B140D8A
	v_mul_f32_e32 v139, v139, v7                               // 000000005EC4: 0B160F8B
	v_mul_f32_e32 v136, v136, v216                             // 000000005EC8: 0B11B188
	v_mul_f32_e32 v137, v137, v217                             // 000000005ECC: 0B13B389
	v_mul_f32_e32 v138, v138, v218                             // 000000005ED0: 0B15B58A
	v_mul_f32_e32 v139, v139, v219                             // 000000005ED4: 0B17B78B
	v_pk_mul_f32 v[4:5], v[140:141], v[140:141]                // 000000005ED8: D3B14004 1803198C
	v_pk_mul_f32 v[6:7], v[142:143], v[142:143]                // 000000005EE0: D3B14006 18031D8E
	v_pk_fma_f32 v[4:5], v[4:5], s[78:79], v[8:9]              // 000000005EE8: D3B04004 1C209D04
	v_pk_fma_f32 v[6:7], v[6:7], s[78:79], v[8:9]              // 000000005EF0: D3B04006 1C209D06
	v_pk_mul_f32 v[4:5], v[4:5], v[140:141]                    // 000000005EF8: D3B14004 18031904
	v_pk_mul_f32 v[6:7], v[6:7], v[142:143]                    // 000000005F00: D3B14006 18031D06
	v_pk_mul_f32 v[4:5], v[4:5], s[60:61]                      // 000000005F08: D3B14004 18007904
	v_pk_mul_f32 v[6:7], v[6:7], s[60:61]                      // 000000005F10: D3B14006 18007906
	v_exp_f32_e32 v4, v4                                       // 000000005F18: 7E084104
	v_exp_f32_e32 v5, v5                                       // 000000005F1C: 7E0A4105
	v_exp_f32_e32 v6, v6                                       // 000000005F20: 7E0C4106
	v_exp_f32_e32 v7, v7                                       // 000000005F24: 7E0E4107
	v_add_f32_e64 v4, v4, 1.0                                  // 000000005F28: D1010004 0001E504
	v_add_f32_e64 v5, v5, 1.0                                  // 000000005F30: D1010005 0001E505
	v_add_f32_e64 v6, v6, 1.0                                  // 000000005F38: D1010006 0001E506
	v_add_f32_e64 v7, v7, 1.0                                  // 000000005F40: D1010007 0001E507
	v_rcp_f32_e32 v4, v4                                       // 000000005F48: 7E084504
	v_rcp_f32_e32 v5, v5                                       // 000000005F4C: 7E0A4505
	v_rcp_f32_e32 v6, v6                                       // 000000005F50: 7E0C4506
	v_rcp_f32_e32 v7, v7                                       // 000000005F54: 7E0E4507
	v_mul_f32_e32 v140, v140, v4                               // 000000005F58: 0B18098C
	v_mul_f32_e32 v141, v141, v5                               // 000000005F5C: 0B1A0B8D
	v_mul_f32_e32 v142, v142, v6                               // 000000005F60: 0B1C0D8E
	v_mul_f32_e32 v143, v143, v7                               // 000000005F64: 0B1E0F8F
	v_mul_f32_e32 v140, v140, v220                             // 000000005F68: 0B19B98C
	v_mul_f32_e32 v141, v141, v221                             // 000000005F6C: 0B1BBB8D
	v_mul_f32_e32 v142, v142, v222                             // 000000005F70: 0B1DBD8E
	v_mul_f32_e32 v143, v143, v223                             // 000000005F74: 0B1FBF8F
	v_pk_mul_f32 v[4:5], v[144:145], v[144:145]                // 000000005F78: D3B14004 18032190
	v_pk_mul_f32 v[6:7], v[146:147], v[146:147]                // 000000005F80: D3B14006 18032592
	v_pk_fma_f32 v[4:5], v[4:5], s[78:79], v[8:9]              // 000000005F88: D3B04004 1C209D04
	v_pk_fma_f32 v[6:7], v[6:7], s[78:79], v[8:9]              // 000000005F90: D3B04006 1C209D06
	v_pk_mul_f32 v[4:5], v[4:5], v[144:145]                    // 000000005F98: D3B14004 18032104
	v_pk_mul_f32 v[6:7], v[6:7], v[146:147]                    // 000000005FA0: D3B14006 18032506
	v_pk_mul_f32 v[4:5], v[4:5], s[60:61]                      // 000000005FA8: D3B14004 18007904
	v_pk_mul_f32 v[6:7], v[6:7], s[60:61]                      // 000000005FB0: D3B14006 18007906
	v_exp_f32_e32 v4, v4                                       // 000000005FB8: 7E084104
	v_exp_f32_e32 v5, v5                                       // 000000005FBC: 7E0A4105
	v_exp_f32_e32 v6, v6                                       // 000000005FC0: 7E0C4106
	v_exp_f32_e32 v7, v7                                       // 000000005FC4: 7E0E4107
	v_add_f32_e64 v4, v4, 1.0                                  // 000000005FC8: D1010004 0001E504
	v_add_f32_e64 v5, v5, 1.0                                  // 000000005FD0: D1010005 0001E505
	v_add_f32_e64 v6, v6, 1.0                                  // 000000005FD8: D1010006 0001E506
	v_add_f32_e64 v7, v7, 1.0                                  // 000000005FE0: D1010007 0001E507
	v_rcp_f32_e32 v4, v4                                       // 000000005FE8: 7E084504
	v_rcp_f32_e32 v5, v5                                       // 000000005FEC: 7E0A4505
	v_rcp_f32_e32 v6, v6                                       // 000000005FF0: 7E0C4506
	v_rcp_f32_e32 v7, v7                                       // 000000005FF4: 7E0E4507
	v_mul_f32_e32 v144, v144, v4                               // 000000005FF8: 0B200990
	v_mul_f32_e32 v145, v145, v5                               // 000000005FFC: 0B220B91
	v_mul_f32_e32 v146, v146, v6                               // 000000006000: 0B240D92
	v_mul_f32_e32 v147, v147, v7                               // 000000006004: 0B260F93
	v_mul_f32_e32 v144, v144, v224                             // 000000006008: 0B21C190
	v_mul_f32_e32 v145, v145, v225                             // 00000000600C: 0B23C391
	v_mul_f32_e32 v146, v146, v226                             // 000000006010: 0B25C592
	v_mul_f32_e32 v147, v147, v227                             // 000000006014: 0B27C793
	v_pk_mul_f32 v[4:5], v[148:149], v[148:149]                // 000000006018: D3B14004 18032994
	v_pk_mul_f32 v[6:7], v[150:151], v[150:151]                // 000000006020: D3B14006 18032D96
	v_pk_fma_f32 v[4:5], v[4:5], s[78:79], v[8:9]              // 000000006028: D3B04004 1C209D04
	v_pk_fma_f32 v[6:7], v[6:7], s[78:79], v[8:9]              // 000000006030: D3B04006 1C209D06
	v_pk_mul_f32 v[4:5], v[4:5], v[148:149]                    // 000000006038: D3B14004 18032904
	v_pk_mul_f32 v[6:7], v[6:7], v[150:151]                    // 000000006040: D3B14006 18032D06
	v_pk_mul_f32 v[4:5], v[4:5], s[60:61]                      // 000000006048: D3B14004 18007904
	v_pk_mul_f32 v[6:7], v[6:7], s[60:61]                      // 000000006050: D3B14006 18007906
	v_exp_f32_e32 v4, v4                                       // 000000006058: 7E084104
	v_exp_f32_e32 v5, v5                                       // 00000000605C: 7E0A4105
	v_exp_f32_e32 v6, v6                                       // 000000006060: 7E0C4106
	v_exp_f32_e32 v7, v7                                       // 000000006064: 7E0E4107
	v_add_f32_e64 v4, v4, 1.0                                  // 000000006068: D1010004 0001E504
	v_add_f32_e64 v5, v5, 1.0                                  // 000000006070: D1010005 0001E505
	v_add_f32_e64 v6, v6, 1.0                                  // 000000006078: D1010006 0001E506
	v_add_f32_e64 v7, v7, 1.0                                  // 000000006080: D1010007 0001E507
	v_rcp_f32_e32 v4, v4                                       // 000000006088: 7E084504
	v_rcp_f32_e32 v5, v5                                       // 00000000608C: 7E0A4505
	v_rcp_f32_e32 v6, v6                                       // 000000006090: 7E0C4506
	v_rcp_f32_e32 v7, v7                                       // 000000006094: 7E0E4507
	v_mul_f32_e32 v148, v148, v4                               // 000000006098: 0B280994
	v_mul_f32_e32 v149, v149, v5                               // 00000000609C: 0B2A0B95
	v_mul_f32_e32 v150, v150, v6                               // 0000000060A0: 0B2C0D96
	v_mul_f32_e32 v151, v151, v7                               // 0000000060A4: 0B2E0F97
	v_mul_f32_e32 v148, v148, v228                             // 0000000060A8: 0B29C994
	v_mul_f32_e32 v149, v149, v229                             // 0000000060AC: 0B2BCB95
	v_mul_f32_e32 v150, v150, v230                             // 0000000060B0: 0B2DCD96
	v_mul_f32_e32 v151, v151, v231                             // 0000000060B4: 0B2FCF97
	v_pk_mul_f32 v[4:5], v[152:153], v[152:153]                // 0000000060B8: D3B14004 18033198
	v_pk_mul_f32 v[6:7], v[154:155], v[154:155]                // 0000000060C0: D3B14006 1803359A
	v_pk_fma_f32 v[4:5], v[4:5], s[78:79], v[8:9]              // 0000000060C8: D3B04004 1C209D04
	v_pk_fma_f32 v[6:7], v[6:7], s[78:79], v[8:9]              // 0000000060D0: D3B04006 1C209D06
	v_pk_mul_f32 v[4:5], v[4:5], v[152:153]                    // 0000000060D8: D3B14004 18033104
	v_pk_mul_f32 v[6:7], v[6:7], v[154:155]                    // 0000000060E0: D3B14006 18033506
	v_pk_mul_f32 v[4:5], v[4:5], s[60:61]                      // 0000000060E8: D3B14004 18007904
	v_pk_mul_f32 v[6:7], v[6:7], s[60:61]                      // 0000000060F0: D3B14006 18007906
	v_exp_f32_e32 v4, v4                                       // 0000000060F8: 7E084104
	v_exp_f32_e32 v5, v5                                       // 0000000060FC: 7E0A4105
	v_exp_f32_e32 v6, v6                                       // 000000006100: 7E0C4106
	v_exp_f32_e32 v7, v7                                       // 000000006104: 7E0E4107
	v_add_f32_e64 v4, v4, 1.0                                  // 000000006108: D1010004 0001E504
	v_add_f32_e64 v5, v5, 1.0                                  // 000000006110: D1010005 0001E505
	v_add_f32_e64 v6, v6, 1.0                                  // 000000006118: D1010006 0001E506
	v_add_f32_e64 v7, v7, 1.0                                  // 000000006120: D1010007 0001E507
	v_rcp_f32_e32 v4, v4                                       // 000000006128: 7E084504
	v_rcp_f32_e32 v5, v5                                       // 00000000612C: 7E0A4505
	v_rcp_f32_e32 v6, v6                                       // 000000006130: 7E0C4506
	v_rcp_f32_e32 v7, v7                                       // 000000006134: 7E0E4507
	v_mul_f32_e32 v152, v152, v4                               // 000000006138: 0B300998
	v_mul_f32_e32 v153, v153, v5                               // 00000000613C: 0B320B99
	v_mul_f32_e32 v154, v154, v6                               // 000000006140: 0B340D9A
	v_mul_f32_e32 v155, v155, v7                               // 000000006144: 0B360F9B
	v_mul_f32_e32 v152, v152, v232                             // 000000006148: 0B31D198
	v_mul_f32_e32 v153, v153, v233                             // 00000000614C: 0B33D399
	v_mul_f32_e32 v154, v154, v234                             // 000000006150: 0B35D59A
	v_mul_f32_e32 v155, v155, v235                             // 000000006154: 0B37D79B
	v_pk_mul_f32 v[4:5], v[156:157], v[156:157]                // 000000006158: D3B14004 1803399C
	v_pk_mul_f32 v[6:7], v[158:159], v[158:159]                // 000000006160: D3B14006 18033D9E
	v_pk_fma_f32 v[4:5], v[4:5], s[78:79], v[8:9]              // 000000006168: D3B04004 1C209D04
	v_pk_fma_f32 v[6:7], v[6:7], s[78:79], v[8:9]              // 000000006170: D3B04006 1C209D06
	v_pk_mul_f32 v[4:5], v[4:5], v[156:157]                    // 000000006178: D3B14004 18033904
	v_pk_mul_f32 v[6:7], v[6:7], v[158:159]                    // 000000006180: D3B14006 18033D06
	v_pk_mul_f32 v[4:5], v[4:5], s[60:61]                      // 000000006188: D3B14004 18007904
	v_pk_mul_f32 v[6:7], v[6:7], s[60:61]                      // 000000006190: D3B14006 18007906
	v_exp_f32_e32 v4, v4                                       // 000000006198: 7E084104
	v_exp_f32_e32 v5, v5                                       // 00000000619C: 7E0A4105
	v_exp_f32_e32 v6, v6                                       // 0000000061A0: 7E0C4106
	v_exp_f32_e32 v7, v7                                       // 0000000061A4: 7E0E4107
	v_add_f32_e64 v4, v4, 1.0                                  // 0000000061A8: D1010004 0001E504
	v_add_f32_e64 v5, v5, 1.0                                  // 0000000061B0: D1010005 0001E505
	v_add_f32_e64 v6, v6, 1.0                                  // 0000000061B8: D1010006 0001E506
	v_add_f32_e64 v7, v7, 1.0                                  // 0000000061C0: D1010007 0001E507
	v_rcp_f32_e32 v4, v4                                       // 0000000061C8: 7E084504
	v_rcp_f32_e32 v5, v5                                       // 0000000061CC: 7E0A4505
	v_rcp_f32_e32 v6, v6                                       // 0000000061D0: 7E0C4506
	v_rcp_f32_e32 v7, v7                                       // 0000000061D4: 7E0E4507
	v_mul_f32_e32 v156, v156, v4                               // 0000000061D8: 0B38099C
	v_mul_f32_e32 v157, v157, v5                               // 0000000061DC: 0B3A0B9D
	v_mul_f32_e32 v158, v158, v6                               // 0000000061E0: 0B3C0D9E
	v_mul_f32_e32 v159, v159, v7                               // 0000000061E4: 0B3E0F9F
	v_mul_f32_e32 v156, v156, v236                             // 0000000061E8: 0B39D99C
	v_mul_f32_e32 v157, v157, v237                             // 0000000061EC: 0B3BDB9D
	v_mul_f32_e32 v158, v158, v238                             // 0000000061F0: 0B3DDD9E
	v_mul_f32_e32 v159, v159, v239                             // 0000000061F4: 0B3FDF9F
	v_pk_mul_f32 v[4:5], v[160:161], v[160:161]                // 0000000061F8: D3B14004 180341A0
	v_pk_mul_f32 v[6:7], v[162:163], v[162:163]                // 000000006200: D3B14006 180345A2
	v_pk_fma_f32 v[4:5], v[4:5], s[78:79], v[8:9]              // 000000006208: D3B04004 1C209D04
	v_pk_fma_f32 v[6:7], v[6:7], s[78:79], v[8:9]              // 000000006210: D3B04006 1C209D06
	v_pk_mul_f32 v[4:5], v[4:5], v[160:161]                    // 000000006218: D3B14004 18034104
	v_pk_mul_f32 v[6:7], v[6:7], v[162:163]                    // 000000006220: D3B14006 18034506
	v_pk_mul_f32 v[4:5], v[4:5], s[60:61]                      // 000000006228: D3B14004 18007904
	v_pk_mul_f32 v[6:7], v[6:7], s[60:61]                      // 000000006230: D3B14006 18007906
	v_exp_f32_e32 v4, v4                                       // 000000006238: 7E084104
	v_exp_f32_e32 v5, v5                                       // 00000000623C: 7E0A4105
	v_exp_f32_e32 v6, v6                                       // 000000006240: 7E0C4106
	v_exp_f32_e32 v7, v7                                       // 000000006244: 7E0E4107
	v_add_f32_e64 v4, v4, 1.0                                  // 000000006248: D1010004 0001E504
	v_add_f32_e64 v5, v5, 1.0                                  // 000000006250: D1010005 0001E505
	v_add_f32_e64 v6, v6, 1.0                                  // 000000006258: D1010006 0001E506
	v_add_f32_e64 v7, v7, 1.0                                  // 000000006260: D1010007 0001E507
	v_rcp_f32_e32 v4, v4                                       // 000000006268: 7E084504
	v_rcp_f32_e32 v5, v5                                       // 00000000626C: 7E0A4505
	v_rcp_f32_e32 v6, v6                                       // 000000006270: 7E0C4506
	v_rcp_f32_e32 v7, v7                                       // 000000006274: 7E0E4507
	v_mul_f32_e32 v160, v160, v4                               // 000000006278: 0B4009A0
	v_mul_f32_e32 v161, v161, v5                               // 00000000627C: 0B420BA1
	v_mul_f32_e32 v162, v162, v6                               // 000000006280: 0B440DA2
	v_mul_f32_e32 v163, v163, v7                               // 000000006284: 0B460FA3
	v_mul_f32_e32 v160, v160, v240                             // 000000006288: 0B41E1A0
	v_mul_f32_e32 v161, v161, v241                             // 00000000628C: 0B43E3A1
	v_mul_f32_e32 v162, v162, v242                             // 000000006290: 0B45E5A2
	v_mul_f32_e32 v163, v163, v243                             // 000000006294: 0B47E7A3
	v_pk_mul_f32 v[4:5], v[164:165], v[164:165]                // 000000006298: D3B14004 180349A4
	v_pk_mul_f32 v[6:7], v[166:167], v[166:167]                // 0000000062A0: D3B14006 18034DA6
	v_pk_fma_f32 v[4:5], v[4:5], s[78:79], v[8:9]              // 0000000062A8: D3B04004 1C209D04
	v_pk_fma_f32 v[6:7], v[6:7], s[78:79], v[8:9]              // 0000000062B0: D3B04006 1C209D06
	v_pk_mul_f32 v[4:5], v[4:5], v[164:165]                    // 0000000062B8: D3B14004 18034904
	v_pk_mul_f32 v[6:7], v[6:7], v[166:167]                    // 0000000062C0: D3B14006 18034D06
	v_pk_mul_f32 v[4:5], v[4:5], s[60:61]                      // 0000000062C8: D3B14004 18007904
	v_pk_mul_f32 v[6:7], v[6:7], s[60:61]                      // 0000000062D0: D3B14006 18007906
	v_exp_f32_e32 v4, v4                                       // 0000000062D8: 7E084104
	v_exp_f32_e32 v5, v5                                       // 0000000062DC: 7E0A4105
	v_exp_f32_e32 v6, v6                                       // 0000000062E0: 7E0C4106
	v_exp_f32_e32 v7, v7                                       // 0000000062E4: 7E0E4107
	v_add_f32_e64 v4, v4, 1.0                                  // 0000000062E8: D1010004 0001E504
	v_add_f32_e64 v5, v5, 1.0                                  // 0000000062F0: D1010005 0001E505
	v_add_f32_e64 v6, v6, 1.0                                  // 0000000062F8: D1010006 0001E506
	v_add_f32_e64 v7, v7, 1.0                                  // 000000006300: D1010007 0001E507
	v_rcp_f32_e32 v4, v4                                       // 000000006308: 7E084504
	v_rcp_f32_e32 v5, v5                                       // 00000000630C: 7E0A4505
	v_rcp_f32_e32 v6, v6                                       // 000000006310: 7E0C4506
	v_rcp_f32_e32 v7, v7                                       // 000000006314: 7E0E4507
	v_mul_f32_e32 v164, v164, v4                               // 000000006318: 0B4809A4
	v_mul_f32_e32 v165, v165, v5                               // 00000000631C: 0B4A0BA5
	v_mul_f32_e32 v166, v166, v6                               // 000000006320: 0B4C0DA6
	v_mul_f32_e32 v167, v167, v7                               // 000000006324: 0B4E0FA7
	v_mul_f32_e32 v164, v164, v244                             // 000000006328: 0B49E9A4
	v_mul_f32_e32 v165, v165, v245                             // 00000000632C: 0B4BEBA5
	v_mul_f32_e32 v166, v166, v246                             // 000000006330: 0B4DEDA6
	v_mul_f32_e32 v167, v167, v247                             // 000000006334: 0B4FEFA7
	v_pk_mul_f32 v[4:5], v[168:169], v[168:169]                // 000000006338: D3B14004 180351A8
	v_pk_mul_f32 v[6:7], v[170:171], v[170:171]                // 000000006340: D3B14006 180355AA
	v_pk_fma_f32 v[4:5], v[4:5], s[78:79], v[8:9]              // 000000006348: D3B04004 1C209D04
	v_pk_fma_f32 v[6:7], v[6:7], s[78:79], v[8:9]              // 000000006350: D3B04006 1C209D06
	v_pk_mul_f32 v[4:5], v[4:5], v[168:169]                    // 000000006358: D3B14004 18035104
	v_pk_mul_f32 v[6:7], v[6:7], v[170:171]                    // 000000006360: D3B14006 18035506
	v_pk_mul_f32 v[4:5], v[4:5], s[60:61]                      // 000000006368: D3B14004 18007904
	v_pk_mul_f32 v[6:7], v[6:7], s[60:61]                      // 000000006370: D3B14006 18007906
	v_exp_f32_e32 v4, v4                                       // 000000006378: 7E084104
	v_exp_f32_e32 v5, v5                                       // 00000000637C: 7E0A4105
	v_exp_f32_e32 v6, v6                                       // 000000006380: 7E0C4106
	v_exp_f32_e32 v7, v7                                       // 000000006384: 7E0E4107
	v_add_f32_e64 v4, v4, 1.0                                  // 000000006388: D1010004 0001E504
	v_add_f32_e64 v5, v5, 1.0                                  // 000000006390: D1010005 0001E505
	v_add_f32_e64 v6, v6, 1.0                                  // 000000006398: D1010006 0001E506
	v_add_f32_e64 v7, v7, 1.0                                  // 0000000063A0: D1010007 0001E507
	v_rcp_f32_e32 v4, v4                                       // 0000000063A8: 7E084504
	v_rcp_f32_e32 v5, v5                                       // 0000000063AC: 7E0A4505
	v_rcp_f32_e32 v6, v6                                       // 0000000063B0: 7E0C4506
	v_rcp_f32_e32 v7, v7                                       // 0000000063B4: 7E0E4507
	v_mul_f32_e32 v168, v168, v4                               // 0000000063B8: 0B5009A8
	v_mul_f32_e32 v169, v169, v5                               // 0000000063BC: 0B520BA9
	v_mul_f32_e32 v170, v170, v6                               // 0000000063C0: 0B540DAA
	v_mul_f32_e32 v171, v171, v7                               // 0000000063C4: 0B560FAB
	v_mul_f32_e32 v168, v168, v248                             // 0000000063C8: 0B51F1A8
	v_mul_f32_e32 v169, v169, v249                             // 0000000063CC: 0B53F3A9
	v_mul_f32_e32 v170, v170, v250                             // 0000000063D0: 0B55F5AA
	v_mul_f32_e32 v171, v171, v251                             // 0000000063D4: 0B57F7AB
	s_branch label_10F7                                        // 0000000063D8: BF820280

00000000000063dc <label_0E77>:
	v_mul_f32_e64 v4, -v92, s6                                 // 0000000063DC: D1050004 20000D5C
	v_mul_f32_e64 v5, -v93, s6                                 // 0000000063E4: D1050005 20000D5D
	v_mul_f32_e64 v6, -v94, s6                                 // 0000000063EC: D1050006 20000D5E
	v_mul_f32_e64 v7, -v95, s6                                 // 0000000063F4: D1050007 20000D5F
	v_exp_f32_e32 v4, v4                                       // 0000000063FC: 7E084104
	v_exp_f32_e32 v5, v5                                       // 000000006400: 7E0A4105
	v_exp_f32_e32 v6, v6                                       // 000000006404: 7E0C4106
	v_exp_f32_e32 v7, v7                                       // 000000006408: 7E0E4107
	v_add_f32_e64 v4, v4, 1.0                                  // 00000000640C: D1010004 0001E504
	v_add_f32_e64 v5, v5, 1.0                                  // 000000006414: D1010005 0001E505
	v_add_f32_e64 v6, v6, 1.0                                  // 00000000641C: D1010006 0001E506
	v_add_f32_e64 v7, v7, 1.0                                  // 000000006424: D1010007 0001E507
	v_rcp_f32_e32 v4, v4                                       // 00000000642C: 7E084504
	v_rcp_f32_e32 v5, v5                                       // 000000006430: 7E0A4505
	v_rcp_f32_e32 v6, v6                                       // 000000006434: 7E0C4506
	v_rcp_f32_e32 v7, v7                                       // 000000006438: 7E0E4507
	v_mul_f32_e32 v92, v92, v4                                 // 00000000643C: 0AB8095C
	v_mul_f32_e32 v93, v93, v5                                 // 000000006440: 0ABA0B5D
	v_mul_f32_e32 v94, v94, v6                                 // 000000006444: 0ABC0D5E
	v_mul_f32_e32 v95, v95, v7                                 // 000000006448: 0ABE0F5F
	v_mul_f32_e32 v92, v92, v172                               // 00000000644C: 0AB9595C
	v_mul_f32_e32 v93, v93, v173                               // 000000006450: 0ABB5B5D
	v_mul_f32_e32 v94, v94, v174                               // 000000006454: 0ABD5D5E
	v_mul_f32_e32 v95, v95, v175                               // 000000006458: 0ABF5F5F
	v_mul_f32_e64 v4, -v96, s6                                 // 00000000645C: D1050004 20000D60
	v_mul_f32_e64 v5, -v97, s6                                 // 000000006464: D1050005 20000D61
	v_mul_f32_e64 v6, -v98, s6                                 // 00000000646C: D1050006 20000D62
	v_mul_f32_e64 v7, -v99, s6                                 // 000000006474: D1050007 20000D63
	v_exp_f32_e32 v4, v4                                       // 00000000647C: 7E084104
	v_exp_f32_e32 v5, v5                                       // 000000006480: 7E0A4105
	v_exp_f32_e32 v6, v6                                       // 000000006484: 7E0C4106
	v_exp_f32_e32 v7, v7                                       // 000000006488: 7E0E4107
	v_add_f32_e64 v4, v4, 1.0                                  // 00000000648C: D1010004 0001E504
	v_add_f32_e64 v5, v5, 1.0                                  // 000000006494: D1010005 0001E505
	v_add_f32_e64 v6, v6, 1.0                                  // 00000000649C: D1010006 0001E506
	v_add_f32_e64 v7, v7, 1.0                                  // 0000000064A4: D1010007 0001E507
	v_rcp_f32_e32 v4, v4                                       // 0000000064AC: 7E084504
	v_rcp_f32_e32 v5, v5                                       // 0000000064B0: 7E0A4505
	v_rcp_f32_e32 v6, v6                                       // 0000000064B4: 7E0C4506
	v_rcp_f32_e32 v7, v7                                       // 0000000064B8: 7E0E4507
	v_mul_f32_e32 v96, v96, v4                                 // 0000000064BC: 0AC00960
	v_mul_f32_e32 v97, v97, v5                                 // 0000000064C0: 0AC20B61
	v_mul_f32_e32 v98, v98, v6                                 // 0000000064C4: 0AC40D62
	v_mul_f32_e32 v99, v99, v7                                 // 0000000064C8: 0AC60F63
	v_mul_f32_e32 v96, v96, v176                               // 0000000064CC: 0AC16160
	v_mul_f32_e32 v97, v97, v177                               // 0000000064D0: 0AC36361
	v_mul_f32_e32 v98, v98, v178                               // 0000000064D4: 0AC56562
	v_mul_f32_e32 v99, v99, v179                               // 0000000064D8: 0AC76763
	v_mul_f32_e64 v4, -v100, s6                                // 0000000064DC: D1050004 20000D64
	v_mul_f32_e64 v5, -v101, s6                                // 0000000064E4: D1050005 20000D65
	v_mul_f32_e64 v6, -v102, s6                                // 0000000064EC: D1050006 20000D66
	v_mul_f32_e64 v7, -v103, s6                                // 0000000064F4: D1050007 20000D67
	v_exp_f32_e32 v4, v4                                       // 0000000064FC: 7E084104
	v_exp_f32_e32 v5, v5                                       // 000000006500: 7E0A4105
	v_exp_f32_e32 v6, v6                                       // 000000006504: 7E0C4106
	v_exp_f32_e32 v7, v7                                       // 000000006508: 7E0E4107
	v_add_f32_e64 v4, v4, 1.0                                  // 00000000650C: D1010004 0001E504
	v_add_f32_e64 v5, v5, 1.0                                  // 000000006514: D1010005 0001E505
	v_add_f32_e64 v6, v6, 1.0                                  // 00000000651C: D1010006 0001E506
	v_add_f32_e64 v7, v7, 1.0                                  // 000000006524: D1010007 0001E507
	v_rcp_f32_e32 v4, v4                                       // 00000000652C: 7E084504
	v_rcp_f32_e32 v5, v5                                       // 000000006530: 7E0A4505
	v_rcp_f32_e32 v6, v6                                       // 000000006534: 7E0C4506
	v_rcp_f32_e32 v7, v7                                       // 000000006538: 7E0E4507
	v_mul_f32_e32 v100, v100, v4                               // 00000000653C: 0AC80964
	v_mul_f32_e32 v101, v101, v5                               // 000000006540: 0ACA0B65
	v_mul_f32_e32 v102, v102, v6                               // 000000006544: 0ACC0D66
	v_mul_f32_e32 v103, v103, v7                               // 000000006548: 0ACE0F67
	v_mul_f32_e32 v100, v100, v180                             // 00000000654C: 0AC96964
	v_mul_f32_e32 v101, v101, v181                             // 000000006550: 0ACB6B65
	v_mul_f32_e32 v102, v102, v182                             // 000000006554: 0ACD6D66
	v_mul_f32_e32 v103, v103, v183                             // 000000006558: 0ACF6F67
	v_mul_f32_e64 v4, -v104, s6                                // 00000000655C: D1050004 20000D68
	v_mul_f32_e64 v5, -v105, s6                                // 000000006564: D1050005 20000D69
	v_mul_f32_e64 v6, -v106, s6                                // 00000000656C: D1050006 20000D6A
	v_mul_f32_e64 v7, -v107, s6                                // 000000006574: D1050007 20000D6B
	v_exp_f32_e32 v4, v4                                       // 00000000657C: 7E084104
	v_exp_f32_e32 v5, v5                                       // 000000006580: 7E0A4105
	v_exp_f32_e32 v6, v6                                       // 000000006584: 7E0C4106
	v_exp_f32_e32 v7, v7                                       // 000000006588: 7E0E4107
	v_add_f32_e64 v4, v4, 1.0                                  // 00000000658C: D1010004 0001E504
	v_add_f32_e64 v5, v5, 1.0                                  // 000000006594: D1010005 0001E505
	v_add_f32_e64 v6, v6, 1.0                                  // 00000000659C: D1010006 0001E506
	v_add_f32_e64 v7, v7, 1.0                                  // 0000000065A4: D1010007 0001E507
	v_rcp_f32_e32 v4, v4                                       // 0000000065AC: 7E084504
	v_rcp_f32_e32 v5, v5                                       // 0000000065B0: 7E0A4505
	v_rcp_f32_e32 v6, v6                                       // 0000000065B4: 7E0C4506
	v_rcp_f32_e32 v7, v7                                       // 0000000065B8: 7E0E4507
	v_mul_f32_e32 v104, v104, v4                               // 0000000065BC: 0AD00968
	v_mul_f32_e32 v105, v105, v5                               // 0000000065C0: 0AD20B69
	v_mul_f32_e32 v106, v106, v6                               // 0000000065C4: 0AD40D6A
	v_mul_f32_e32 v107, v107, v7                               // 0000000065C8: 0AD60F6B
	v_mul_f32_e32 v104, v104, v184                             // 0000000065CC: 0AD17168
	v_mul_f32_e32 v105, v105, v185                             // 0000000065D0: 0AD37369
	v_mul_f32_e32 v106, v106, v186                             // 0000000065D4: 0AD5756A
	v_mul_f32_e32 v107, v107, v187                             // 0000000065D8: 0AD7776B
	v_mul_f32_e64 v4, -v108, s6                                // 0000000065DC: D1050004 20000D6C
	v_mul_f32_e64 v5, -v109, s6                                // 0000000065E4: D1050005 20000D6D
	v_mul_f32_e64 v6, -v110, s6                                // 0000000065EC: D1050006 20000D6E
	v_mul_f32_e64 v7, -v111, s6                                // 0000000065F4: D1050007 20000D6F
	v_exp_f32_e32 v4, v4                                       // 0000000065FC: 7E084104
	v_exp_f32_e32 v5, v5                                       // 000000006600: 7E0A4105
	v_exp_f32_e32 v6, v6                                       // 000000006604: 7E0C4106
	v_exp_f32_e32 v7, v7                                       // 000000006608: 7E0E4107
	v_add_f32_e64 v4, v4, 1.0                                  // 00000000660C: D1010004 0001E504
	v_add_f32_e64 v5, v5, 1.0                                  // 000000006614: D1010005 0001E505
	v_add_f32_e64 v6, v6, 1.0                                  // 00000000661C: D1010006 0001E506
	v_add_f32_e64 v7, v7, 1.0                                  // 000000006624: D1010007 0001E507
	v_rcp_f32_e32 v4, v4                                       // 00000000662C: 7E084504
	v_rcp_f32_e32 v5, v5                                       // 000000006630: 7E0A4505
	v_rcp_f32_e32 v6, v6                                       // 000000006634: 7E0C4506
	v_rcp_f32_e32 v7, v7                                       // 000000006638: 7E0E4507
	v_mul_f32_e32 v108, v108, v4                               // 00000000663C: 0AD8096C
	v_mul_f32_e32 v109, v109, v5                               // 000000006640: 0ADA0B6D
	v_mul_f32_e32 v110, v110, v6                               // 000000006644: 0ADC0D6E
	v_mul_f32_e32 v111, v111, v7                               // 000000006648: 0ADE0F6F
	v_mul_f32_e32 v108, v108, v188                             // 00000000664C: 0AD9796C
	v_mul_f32_e32 v109, v109, v189                             // 000000006650: 0ADB7B6D
	v_mul_f32_e32 v110, v110, v190                             // 000000006654: 0ADD7D6E
	v_mul_f32_e32 v111, v111, v191                             // 000000006658: 0ADF7F6F
	v_mul_f32_e64 v4, -v112, s6                                // 00000000665C: D1050004 20000D70
	v_mul_f32_e64 v5, -v113, s6                                // 000000006664: D1050005 20000D71
	v_mul_f32_e64 v6, -v114, s6                                // 00000000666C: D1050006 20000D72
	v_mul_f32_e64 v7, -v115, s6                                // 000000006674: D1050007 20000D73
	v_exp_f32_e32 v4, v4                                       // 00000000667C: 7E084104
	v_exp_f32_e32 v5, v5                                       // 000000006680: 7E0A4105
	v_exp_f32_e32 v6, v6                                       // 000000006684: 7E0C4106
	v_exp_f32_e32 v7, v7                                       // 000000006688: 7E0E4107
	v_add_f32_e64 v4, v4, 1.0                                  // 00000000668C: D1010004 0001E504
	v_add_f32_e64 v5, v5, 1.0                                  // 000000006694: D1010005 0001E505
	v_add_f32_e64 v6, v6, 1.0                                  // 00000000669C: D1010006 0001E506
	v_add_f32_e64 v7, v7, 1.0                                  // 0000000066A4: D1010007 0001E507
	v_rcp_f32_e32 v4, v4                                       // 0000000066AC: 7E084504
	v_rcp_f32_e32 v5, v5                                       // 0000000066B0: 7E0A4505
	v_rcp_f32_e32 v6, v6                                       // 0000000066B4: 7E0C4506
	v_rcp_f32_e32 v7, v7                                       // 0000000066B8: 7E0E4507
	v_mul_f32_e32 v112, v112, v4                               // 0000000066BC: 0AE00970
	v_mul_f32_e32 v113, v113, v5                               // 0000000066C0: 0AE20B71
	v_mul_f32_e32 v114, v114, v6                               // 0000000066C4: 0AE40D72
	v_mul_f32_e32 v115, v115, v7                               // 0000000066C8: 0AE60F73
	v_mul_f32_e32 v112, v112, v192                             // 0000000066CC: 0AE18170
	v_mul_f32_e32 v113, v113, v193                             // 0000000066D0: 0AE38371
	v_mul_f32_e32 v114, v114, v194                             // 0000000066D4: 0AE58572
	v_mul_f32_e32 v115, v115, v195                             // 0000000066D8: 0AE78773
	v_mul_f32_e64 v4, -v116, s6                                // 0000000066DC: D1050004 20000D74
	v_mul_f32_e64 v5, -v117, s6                                // 0000000066E4: D1050005 20000D75
	v_mul_f32_e64 v6, -v118, s6                                // 0000000066EC: D1050006 20000D76
	v_mul_f32_e64 v7, -v119, s6                                // 0000000066F4: D1050007 20000D77
	v_exp_f32_e32 v4, v4                                       // 0000000066FC: 7E084104
	v_exp_f32_e32 v5, v5                                       // 000000006700: 7E0A4105
	v_exp_f32_e32 v6, v6                                       // 000000006704: 7E0C4106
	v_exp_f32_e32 v7, v7                                       // 000000006708: 7E0E4107
	v_add_f32_e64 v4, v4, 1.0                                  // 00000000670C: D1010004 0001E504
	v_add_f32_e64 v5, v5, 1.0                                  // 000000006714: D1010005 0001E505
	v_add_f32_e64 v6, v6, 1.0                                  // 00000000671C: D1010006 0001E506
	v_add_f32_e64 v7, v7, 1.0                                  // 000000006724: D1010007 0001E507
	v_rcp_f32_e32 v4, v4                                       // 00000000672C: 7E084504
	v_rcp_f32_e32 v5, v5                                       // 000000006730: 7E0A4505
	v_rcp_f32_e32 v6, v6                                       // 000000006734: 7E0C4506
	v_rcp_f32_e32 v7, v7                                       // 000000006738: 7E0E4507
	v_mul_f32_e32 v116, v116, v4                               // 00000000673C: 0AE80974
	v_mul_f32_e32 v117, v117, v5                               // 000000006740: 0AEA0B75
	v_mul_f32_e32 v118, v118, v6                               // 000000006744: 0AEC0D76
	v_mul_f32_e32 v119, v119, v7                               // 000000006748: 0AEE0F77
	v_mul_f32_e32 v116, v116, v196                             // 00000000674C: 0AE98974
	v_mul_f32_e32 v117, v117, v197                             // 000000006750: 0AEB8B75
	v_mul_f32_e32 v118, v118, v198                             // 000000006754: 0AED8D76
	v_mul_f32_e32 v119, v119, v199                             // 000000006758: 0AEF8F77
	v_mul_f32_e64 v4, -v120, s6                                // 00000000675C: D1050004 20000D78
	v_mul_f32_e64 v5, -v121, s6                                // 000000006764: D1050005 20000D79
	v_mul_f32_e64 v6, -v122, s6                                // 00000000676C: D1050006 20000D7A
	v_mul_f32_e64 v7, -v123, s6                                // 000000006774: D1050007 20000D7B
	v_exp_f32_e32 v4, v4                                       // 00000000677C: 7E084104
	v_exp_f32_e32 v5, v5                                       // 000000006780: 7E0A4105
	v_exp_f32_e32 v6, v6                                       // 000000006784: 7E0C4106
	v_exp_f32_e32 v7, v7                                       // 000000006788: 7E0E4107
	v_add_f32_e64 v4, v4, 1.0                                  // 00000000678C: D1010004 0001E504
	v_add_f32_e64 v5, v5, 1.0                                  // 000000006794: D1010005 0001E505
	v_add_f32_e64 v6, v6, 1.0                                  // 00000000679C: D1010006 0001E506
	v_add_f32_e64 v7, v7, 1.0                                  // 0000000067A4: D1010007 0001E507
	v_rcp_f32_e32 v4, v4                                       // 0000000067AC: 7E084504
	v_rcp_f32_e32 v5, v5                                       // 0000000067B0: 7E0A4505
	v_rcp_f32_e32 v6, v6                                       // 0000000067B4: 7E0C4506
	v_rcp_f32_e32 v7, v7                                       // 0000000067B8: 7E0E4507
	v_mul_f32_e32 v120, v120, v4                               // 0000000067BC: 0AF00978
	v_mul_f32_e32 v121, v121, v5                               // 0000000067C0: 0AF20B79
	v_mul_f32_e32 v122, v122, v6                               // 0000000067C4: 0AF40D7A
	v_mul_f32_e32 v123, v123, v7                               // 0000000067C8: 0AF60F7B
	v_mul_f32_e32 v120, v120, v200                             // 0000000067CC: 0AF19178
	v_mul_f32_e32 v121, v121, v201                             // 0000000067D0: 0AF39379
	v_mul_f32_e32 v122, v122, v202                             // 0000000067D4: 0AF5957A
	v_mul_f32_e32 v123, v123, v203                             // 0000000067D8: 0AF7977B
	v_mul_f32_e64 v4, -v124, s6                                // 0000000067DC: D1050004 20000D7C
	v_mul_f32_e64 v5, -v125, s6                                // 0000000067E4: D1050005 20000D7D
	v_mul_f32_e64 v6, -v126, s6                                // 0000000067EC: D1050006 20000D7E
	v_mul_f32_e64 v7, -v127, s6                                // 0000000067F4: D1050007 20000D7F
	v_exp_f32_e32 v4, v4                                       // 0000000067FC: 7E084104
	v_exp_f32_e32 v5, v5                                       // 000000006800: 7E0A4105
	v_exp_f32_e32 v6, v6                                       // 000000006804: 7E0C4106
	v_exp_f32_e32 v7, v7                                       // 000000006808: 7E0E4107
	v_add_f32_e64 v4, v4, 1.0                                  // 00000000680C: D1010004 0001E504
	v_add_f32_e64 v5, v5, 1.0                                  // 000000006814: D1010005 0001E505
	v_add_f32_e64 v6, v6, 1.0                                  // 00000000681C: D1010006 0001E506
	v_add_f32_e64 v7, v7, 1.0                                  // 000000006824: D1010007 0001E507
	v_rcp_f32_e32 v4, v4                                       // 00000000682C: 7E084504
	v_rcp_f32_e32 v5, v5                                       // 000000006830: 7E0A4505
	v_rcp_f32_e32 v6, v6                                       // 000000006834: 7E0C4506
	v_rcp_f32_e32 v7, v7                                       // 000000006838: 7E0E4507
	v_mul_f32_e32 v124, v124, v4                               // 00000000683C: 0AF8097C
	v_mul_f32_e32 v125, v125, v5                               // 000000006840: 0AFA0B7D
	v_mul_f32_e32 v126, v126, v6                               // 000000006844: 0AFC0D7E
	v_mul_f32_e32 v127, v127, v7                               // 000000006848: 0AFE0F7F
	v_mul_f32_e32 v124, v124, v204                             // 00000000684C: 0AF9997C
	v_mul_f32_e32 v125, v125, v205                             // 000000006850: 0AFB9B7D
	v_mul_f32_e32 v126, v126, v206                             // 000000006854: 0AFD9D7E
	v_mul_f32_e32 v127, v127, v207                             // 000000006858: 0AFF9F7F
	v_mul_f32_e64 v4, -v128, s6                                // 00000000685C: D1050004 20000D80
	v_mul_f32_e64 v5, -v129, s6                                // 000000006864: D1050005 20000D81
	v_mul_f32_e64 v6, -v130, s6                                // 00000000686C: D1050006 20000D82
	v_mul_f32_e64 v7, -v131, s6                                // 000000006874: D1050007 20000D83
	v_exp_f32_e32 v4, v4                                       // 00000000687C: 7E084104
	v_exp_f32_e32 v5, v5                                       // 000000006880: 7E0A4105
	v_exp_f32_e32 v6, v6                                       // 000000006884: 7E0C4106
	v_exp_f32_e32 v7, v7                                       // 000000006888: 7E0E4107
	v_add_f32_e64 v4, v4, 1.0                                  // 00000000688C: D1010004 0001E504
	v_add_f32_e64 v5, v5, 1.0                                  // 000000006894: D1010005 0001E505
	v_add_f32_e64 v6, v6, 1.0                                  // 00000000689C: D1010006 0001E506
	v_add_f32_e64 v7, v7, 1.0                                  // 0000000068A4: D1010007 0001E507
	v_rcp_f32_e32 v4, v4                                       // 0000000068AC: 7E084504
	v_rcp_f32_e32 v5, v5                                       // 0000000068B0: 7E0A4505
	v_rcp_f32_e32 v6, v6                                       // 0000000068B4: 7E0C4506
	v_rcp_f32_e32 v7, v7                                       // 0000000068B8: 7E0E4507
	v_mul_f32_e32 v128, v128, v4                               // 0000000068BC: 0B000980
	v_mul_f32_e32 v129, v129, v5                               // 0000000068C0: 0B020B81
	v_mul_f32_e32 v130, v130, v6                               // 0000000068C4: 0B040D82
	v_mul_f32_e32 v131, v131, v7                               // 0000000068C8: 0B060F83
	v_mul_f32_e32 v128, v128, v208                             // 0000000068CC: 0B01A180
	v_mul_f32_e32 v129, v129, v209                             // 0000000068D0: 0B03A381
	v_mul_f32_e32 v130, v130, v210                             // 0000000068D4: 0B05A582
	v_mul_f32_e32 v131, v131, v211                             // 0000000068D8: 0B07A783
	v_mul_f32_e64 v4, -v132, s6                                // 0000000068DC: D1050004 20000D84
	v_mul_f32_e64 v5, -v133, s6                                // 0000000068E4: D1050005 20000D85
	v_mul_f32_e64 v6, -v134, s6                                // 0000000068EC: D1050006 20000D86
	v_mul_f32_e64 v7, -v135, s6                                // 0000000068F4: D1050007 20000D87
	v_exp_f32_e32 v4, v4                                       // 0000000068FC: 7E084104
	v_exp_f32_e32 v5, v5                                       // 000000006900: 7E0A4105
	v_exp_f32_e32 v6, v6                                       // 000000006904: 7E0C4106
	v_exp_f32_e32 v7, v7                                       // 000000006908: 7E0E4107
	v_add_f32_e64 v4, v4, 1.0                                  // 00000000690C: D1010004 0001E504
	v_add_f32_e64 v5, v5, 1.0                                  // 000000006914: D1010005 0001E505
	v_add_f32_e64 v6, v6, 1.0                                  // 00000000691C: D1010006 0001E506
	v_add_f32_e64 v7, v7, 1.0                                  // 000000006924: D1010007 0001E507
	v_rcp_f32_e32 v4, v4                                       // 00000000692C: 7E084504
	v_rcp_f32_e32 v5, v5                                       // 000000006930: 7E0A4505
	v_rcp_f32_e32 v6, v6                                       // 000000006934: 7E0C4506
	v_rcp_f32_e32 v7, v7                                       // 000000006938: 7E0E4507
	v_mul_f32_e32 v132, v132, v4                               // 00000000693C: 0B080984
	v_mul_f32_e32 v133, v133, v5                               // 000000006940: 0B0A0B85
	v_mul_f32_e32 v134, v134, v6                               // 000000006944: 0B0C0D86
	v_mul_f32_e32 v135, v135, v7                               // 000000006948: 0B0E0F87
	v_mul_f32_e32 v132, v132, v212                             // 00000000694C: 0B09A984
	v_mul_f32_e32 v133, v133, v213                             // 000000006950: 0B0BAB85
	v_mul_f32_e32 v134, v134, v214                             // 000000006954: 0B0DAD86
	v_mul_f32_e32 v135, v135, v215                             // 000000006958: 0B0FAF87
	v_mul_f32_e64 v4, -v136, s6                                // 00000000695C: D1050004 20000D88
	v_mul_f32_e64 v5, -v137, s6                                // 000000006964: D1050005 20000D89
	v_mul_f32_e64 v6, -v138, s6                                // 00000000696C: D1050006 20000D8A
	v_mul_f32_e64 v7, -v139, s6                                // 000000006974: D1050007 20000D8B
	v_exp_f32_e32 v4, v4                                       // 00000000697C: 7E084104
	v_exp_f32_e32 v5, v5                                       // 000000006980: 7E0A4105
	v_exp_f32_e32 v6, v6                                       // 000000006984: 7E0C4106
	v_exp_f32_e32 v7, v7                                       // 000000006988: 7E0E4107
	v_add_f32_e64 v4, v4, 1.0                                  // 00000000698C: D1010004 0001E504
	v_add_f32_e64 v5, v5, 1.0                                  // 000000006994: D1010005 0001E505
	v_add_f32_e64 v6, v6, 1.0                                  // 00000000699C: D1010006 0001E506
	v_add_f32_e64 v7, v7, 1.0                                  // 0000000069A4: D1010007 0001E507
	v_rcp_f32_e32 v4, v4                                       // 0000000069AC: 7E084504
	v_rcp_f32_e32 v5, v5                                       // 0000000069B0: 7E0A4505
	v_rcp_f32_e32 v6, v6                                       // 0000000069B4: 7E0C4506
	v_rcp_f32_e32 v7, v7                                       // 0000000069B8: 7E0E4507
	v_mul_f32_e32 v136, v136, v4                               // 0000000069BC: 0B100988
	v_mul_f32_e32 v137, v137, v5                               // 0000000069C0: 0B120B89
	v_mul_f32_e32 v138, v138, v6                               // 0000000069C4: 0B140D8A
	v_mul_f32_e32 v139, v139, v7                               // 0000000069C8: 0B160F8B
	v_mul_f32_e32 v136, v136, v216                             // 0000000069CC: 0B11B188
	v_mul_f32_e32 v137, v137, v217                             // 0000000069D0: 0B13B389
	v_mul_f32_e32 v138, v138, v218                             // 0000000069D4: 0B15B58A
	v_mul_f32_e32 v139, v139, v219                             // 0000000069D8: 0B17B78B
	v_mul_f32_e64 v4, -v140, s6                                // 0000000069DC: D1050004 20000D8C
	v_mul_f32_e64 v5, -v141, s6                                // 0000000069E4: D1050005 20000D8D
	v_mul_f32_e64 v6, -v142, s6                                // 0000000069EC: D1050006 20000D8E
	v_mul_f32_e64 v7, -v143, s6                                // 0000000069F4: D1050007 20000D8F
	v_exp_f32_e32 v4, v4                                       // 0000000069FC: 7E084104
	v_exp_f32_e32 v5, v5                                       // 000000006A00: 7E0A4105
	v_exp_f32_e32 v6, v6                                       // 000000006A04: 7E0C4106
	v_exp_f32_e32 v7, v7                                       // 000000006A08: 7E0E4107
	v_add_f32_e64 v4, v4, 1.0                                  // 000000006A0C: D1010004 0001E504
	v_add_f32_e64 v5, v5, 1.0                                  // 000000006A14: D1010005 0001E505
	v_add_f32_e64 v6, v6, 1.0                                  // 000000006A1C: D1010006 0001E506
	v_add_f32_e64 v7, v7, 1.0                                  // 000000006A24: D1010007 0001E507
	v_rcp_f32_e32 v4, v4                                       // 000000006A2C: 7E084504
	v_rcp_f32_e32 v5, v5                                       // 000000006A30: 7E0A4505
	v_rcp_f32_e32 v6, v6                                       // 000000006A34: 7E0C4506
	v_rcp_f32_e32 v7, v7                                       // 000000006A38: 7E0E4507
	v_mul_f32_e32 v140, v140, v4                               // 000000006A3C: 0B18098C
	v_mul_f32_e32 v141, v141, v5                               // 000000006A40: 0B1A0B8D
	v_mul_f32_e32 v142, v142, v6                               // 000000006A44: 0B1C0D8E
	v_mul_f32_e32 v143, v143, v7                               // 000000006A48: 0B1E0F8F
	v_mul_f32_e32 v140, v140, v220                             // 000000006A4C: 0B19B98C
	v_mul_f32_e32 v141, v141, v221                             // 000000006A50: 0B1BBB8D
	v_mul_f32_e32 v142, v142, v222                             // 000000006A54: 0B1DBD8E
	v_mul_f32_e32 v143, v143, v223                             // 000000006A58: 0B1FBF8F
	v_mul_f32_e64 v4, -v144, s6                                // 000000006A5C: D1050004 20000D90
	v_mul_f32_e64 v5, -v145, s6                                // 000000006A64: D1050005 20000D91
	v_mul_f32_e64 v6, -v146, s6                                // 000000006A6C: D1050006 20000D92
	v_mul_f32_e64 v7, -v147, s6                                // 000000006A74: D1050007 20000D93
	v_exp_f32_e32 v4, v4                                       // 000000006A7C: 7E084104
	v_exp_f32_e32 v5, v5                                       // 000000006A80: 7E0A4105
	v_exp_f32_e32 v6, v6                                       // 000000006A84: 7E0C4106
	v_exp_f32_e32 v7, v7                                       // 000000006A88: 7E0E4107
	v_add_f32_e64 v4, v4, 1.0                                  // 000000006A8C: D1010004 0001E504
	v_add_f32_e64 v5, v5, 1.0                                  // 000000006A94: D1010005 0001E505
	v_add_f32_e64 v6, v6, 1.0                                  // 000000006A9C: D1010006 0001E506
	v_add_f32_e64 v7, v7, 1.0                                  // 000000006AA4: D1010007 0001E507
	v_rcp_f32_e32 v4, v4                                       // 000000006AAC: 7E084504
	v_rcp_f32_e32 v5, v5                                       // 000000006AB0: 7E0A4505
	v_rcp_f32_e32 v6, v6                                       // 000000006AB4: 7E0C4506
	v_rcp_f32_e32 v7, v7                                       // 000000006AB8: 7E0E4507
	v_mul_f32_e32 v144, v144, v4                               // 000000006ABC: 0B200990
	v_mul_f32_e32 v145, v145, v5                               // 000000006AC0: 0B220B91
	v_mul_f32_e32 v146, v146, v6                               // 000000006AC4: 0B240D92
	v_mul_f32_e32 v147, v147, v7                               // 000000006AC8: 0B260F93
	v_mul_f32_e32 v144, v144, v224                             // 000000006ACC: 0B21C190
	v_mul_f32_e32 v145, v145, v225                             // 000000006AD0: 0B23C391
	v_mul_f32_e32 v146, v146, v226                             // 000000006AD4: 0B25C592
	v_mul_f32_e32 v147, v147, v227                             // 000000006AD8: 0B27C793
	v_mul_f32_e64 v4, -v148, s6                                // 000000006ADC: D1050004 20000D94
	v_mul_f32_e64 v5, -v149, s6                                // 000000006AE4: D1050005 20000D95
	v_mul_f32_e64 v6, -v150, s6                                // 000000006AEC: D1050006 20000D96
	v_mul_f32_e64 v7, -v151, s6                                // 000000006AF4: D1050007 20000D97
	v_exp_f32_e32 v4, v4                                       // 000000006AFC: 7E084104
	v_exp_f32_e32 v5, v5                                       // 000000006B00: 7E0A4105
	v_exp_f32_e32 v6, v6                                       // 000000006B04: 7E0C4106
	v_exp_f32_e32 v7, v7                                       // 000000006B08: 7E0E4107
	v_add_f32_e64 v4, v4, 1.0                                  // 000000006B0C: D1010004 0001E504
	v_add_f32_e64 v5, v5, 1.0                                  // 000000006B14: D1010005 0001E505
	v_add_f32_e64 v6, v6, 1.0                                  // 000000006B1C: D1010006 0001E506
	v_add_f32_e64 v7, v7, 1.0                                  // 000000006B24: D1010007 0001E507
	v_rcp_f32_e32 v4, v4                                       // 000000006B2C: 7E084504
	v_rcp_f32_e32 v5, v5                                       // 000000006B30: 7E0A4505
	v_rcp_f32_e32 v6, v6                                       // 000000006B34: 7E0C4506
	v_rcp_f32_e32 v7, v7                                       // 000000006B38: 7E0E4507
	v_mul_f32_e32 v148, v148, v4                               // 000000006B3C: 0B280994
	v_mul_f32_e32 v149, v149, v5                               // 000000006B40: 0B2A0B95
	v_mul_f32_e32 v150, v150, v6                               // 000000006B44: 0B2C0D96
	v_mul_f32_e32 v151, v151, v7                               // 000000006B48: 0B2E0F97
	v_mul_f32_e32 v148, v148, v228                             // 000000006B4C: 0B29C994
	v_mul_f32_e32 v149, v149, v229                             // 000000006B50: 0B2BCB95
	v_mul_f32_e32 v150, v150, v230                             // 000000006B54: 0B2DCD96
	v_mul_f32_e32 v151, v151, v231                             // 000000006B58: 0B2FCF97
	v_mul_f32_e64 v4, -v152, s6                                // 000000006B5C: D1050004 20000D98
	v_mul_f32_e64 v5, -v153, s6                                // 000000006B64: D1050005 20000D99
	v_mul_f32_e64 v6, -v154, s6                                // 000000006B6C: D1050006 20000D9A
	v_mul_f32_e64 v7, -v155, s6                                // 000000006B74: D1050007 20000D9B
	v_exp_f32_e32 v4, v4                                       // 000000006B7C: 7E084104
	v_exp_f32_e32 v5, v5                                       // 000000006B80: 7E0A4105
	v_exp_f32_e32 v6, v6                                       // 000000006B84: 7E0C4106
	v_exp_f32_e32 v7, v7                                       // 000000006B88: 7E0E4107
	v_add_f32_e64 v4, v4, 1.0                                  // 000000006B8C: D1010004 0001E504
	v_add_f32_e64 v5, v5, 1.0                                  // 000000006B94: D1010005 0001E505
	v_add_f32_e64 v6, v6, 1.0                                  // 000000006B9C: D1010006 0001E506
	v_add_f32_e64 v7, v7, 1.0                                  // 000000006BA4: D1010007 0001E507
	v_rcp_f32_e32 v4, v4                                       // 000000006BAC: 7E084504
	v_rcp_f32_e32 v5, v5                                       // 000000006BB0: 7E0A4505
	v_rcp_f32_e32 v6, v6                                       // 000000006BB4: 7E0C4506
	v_rcp_f32_e32 v7, v7                                       // 000000006BB8: 7E0E4507
	v_mul_f32_e32 v152, v152, v4                               // 000000006BBC: 0B300998
	v_mul_f32_e32 v153, v153, v5                               // 000000006BC0: 0B320B99
	v_mul_f32_e32 v154, v154, v6                               // 000000006BC4: 0B340D9A
	v_mul_f32_e32 v155, v155, v7                               // 000000006BC8: 0B360F9B
	v_mul_f32_e32 v152, v152, v232                             // 000000006BCC: 0B31D198
	v_mul_f32_e32 v153, v153, v233                             // 000000006BD0: 0B33D399
	v_mul_f32_e32 v154, v154, v234                             // 000000006BD4: 0B35D59A
	v_mul_f32_e32 v155, v155, v235                             // 000000006BD8: 0B37D79B
	v_mul_f32_e64 v4, -v156, s6                                // 000000006BDC: D1050004 20000D9C
	v_mul_f32_e64 v5, -v157, s6                                // 000000006BE4: D1050005 20000D9D
	v_mul_f32_e64 v6, -v158, s6                                // 000000006BEC: D1050006 20000D9E
	v_mul_f32_e64 v7, -v159, s6                                // 000000006BF4: D1050007 20000D9F
	v_exp_f32_e32 v4, v4                                       // 000000006BFC: 7E084104
	v_exp_f32_e32 v5, v5                                       // 000000006C00: 7E0A4105
	v_exp_f32_e32 v6, v6                                       // 000000006C04: 7E0C4106
	v_exp_f32_e32 v7, v7                                       // 000000006C08: 7E0E4107
	v_add_f32_e64 v4, v4, 1.0                                  // 000000006C0C: D1010004 0001E504
	v_add_f32_e64 v5, v5, 1.0                                  // 000000006C14: D1010005 0001E505
	v_add_f32_e64 v6, v6, 1.0                                  // 000000006C1C: D1010006 0001E506
	v_add_f32_e64 v7, v7, 1.0                                  // 000000006C24: D1010007 0001E507
	v_rcp_f32_e32 v4, v4                                       // 000000006C2C: 7E084504
	v_rcp_f32_e32 v5, v5                                       // 000000006C30: 7E0A4505
	v_rcp_f32_e32 v6, v6                                       // 000000006C34: 7E0C4506
	v_rcp_f32_e32 v7, v7                                       // 000000006C38: 7E0E4507
	v_mul_f32_e32 v156, v156, v4                               // 000000006C3C: 0B38099C
	v_mul_f32_e32 v157, v157, v5                               // 000000006C40: 0B3A0B9D
	v_mul_f32_e32 v158, v158, v6                               // 000000006C44: 0B3C0D9E
	v_mul_f32_e32 v159, v159, v7                               // 000000006C48: 0B3E0F9F
	v_mul_f32_e32 v156, v156, v236                             // 000000006C4C: 0B39D99C
	v_mul_f32_e32 v157, v157, v237                             // 000000006C50: 0B3BDB9D
	v_mul_f32_e32 v158, v158, v238                             // 000000006C54: 0B3DDD9E
	v_mul_f32_e32 v159, v159, v239                             // 000000006C58: 0B3FDF9F
	v_mul_f32_e64 v4, -v160, s6                                // 000000006C5C: D1050004 20000DA0
	v_mul_f32_e64 v5, -v161, s6                                // 000000006C64: D1050005 20000DA1
	v_mul_f32_e64 v6, -v162, s6                                // 000000006C6C: D1050006 20000DA2
	v_mul_f32_e64 v7, -v163, s6                                // 000000006C74: D1050007 20000DA3
	v_exp_f32_e32 v4, v4                                       // 000000006C7C: 7E084104
	v_exp_f32_e32 v5, v5                                       // 000000006C80: 7E0A4105
	v_exp_f32_e32 v6, v6                                       // 000000006C84: 7E0C4106
	v_exp_f32_e32 v7, v7                                       // 000000006C88: 7E0E4107
	v_add_f32_e64 v4, v4, 1.0                                  // 000000006C8C: D1010004 0001E504
	v_add_f32_e64 v5, v5, 1.0                                  // 000000006C94: D1010005 0001E505
	v_add_f32_e64 v6, v6, 1.0                                  // 000000006C9C: D1010006 0001E506
	v_add_f32_e64 v7, v7, 1.0                                  // 000000006CA4: D1010007 0001E507
	v_rcp_f32_e32 v4, v4                                       // 000000006CAC: 7E084504
	v_rcp_f32_e32 v5, v5                                       // 000000006CB0: 7E0A4505
	v_rcp_f32_e32 v6, v6                                       // 000000006CB4: 7E0C4506
	v_rcp_f32_e32 v7, v7                                       // 000000006CB8: 7E0E4507
	v_mul_f32_e32 v160, v160, v4                               // 000000006CBC: 0B4009A0
	v_mul_f32_e32 v161, v161, v5                               // 000000006CC0: 0B420BA1
	v_mul_f32_e32 v162, v162, v6                               // 000000006CC4: 0B440DA2
	v_mul_f32_e32 v163, v163, v7                               // 000000006CC8: 0B460FA3
	v_mul_f32_e32 v160, v160, v240                             // 000000006CCC: 0B41E1A0
	v_mul_f32_e32 v161, v161, v241                             // 000000006CD0: 0B43E3A1
	v_mul_f32_e32 v162, v162, v242                             // 000000006CD4: 0B45E5A2
	v_mul_f32_e32 v163, v163, v243                             // 000000006CD8: 0B47E7A3
	v_mul_f32_e64 v4, -v164, s6                                // 000000006CDC: D1050004 20000DA4
	v_mul_f32_e64 v5, -v165, s6                                // 000000006CE4: D1050005 20000DA5
	v_mul_f32_e64 v6, -v166, s6                                // 000000006CEC: D1050006 20000DA6
	v_mul_f32_e64 v7, -v167, s6                                // 000000006CF4: D1050007 20000DA7
	v_exp_f32_e32 v4, v4                                       // 000000006CFC: 7E084104
	v_exp_f32_e32 v5, v5                                       // 000000006D00: 7E0A4105
	v_exp_f32_e32 v6, v6                                       // 000000006D04: 7E0C4106
	v_exp_f32_e32 v7, v7                                       // 000000006D08: 7E0E4107
	v_add_f32_e64 v4, v4, 1.0                                  // 000000006D0C: D1010004 0001E504
	v_add_f32_e64 v5, v5, 1.0                                  // 000000006D14: D1010005 0001E505
	v_add_f32_e64 v6, v6, 1.0                                  // 000000006D1C: D1010006 0001E506
	v_add_f32_e64 v7, v7, 1.0                                  // 000000006D24: D1010007 0001E507
	v_rcp_f32_e32 v4, v4                                       // 000000006D2C: 7E084504
	v_rcp_f32_e32 v5, v5                                       // 000000006D30: 7E0A4505
	v_rcp_f32_e32 v6, v6                                       // 000000006D34: 7E0C4506
	v_rcp_f32_e32 v7, v7                                       // 000000006D38: 7E0E4507
	v_mul_f32_e32 v164, v164, v4                               // 000000006D3C: 0B4809A4
	v_mul_f32_e32 v165, v165, v5                               // 000000006D40: 0B4A0BA5
	v_mul_f32_e32 v166, v166, v6                               // 000000006D44: 0B4C0DA6
	v_mul_f32_e32 v167, v167, v7                               // 000000006D48: 0B4E0FA7
	v_mul_f32_e32 v164, v164, v244                             // 000000006D4C: 0B49E9A4
	v_mul_f32_e32 v165, v165, v245                             // 000000006D50: 0B4BEBA5
	v_mul_f32_e32 v166, v166, v246                             // 000000006D54: 0B4DEDA6
	v_mul_f32_e32 v167, v167, v247                             // 000000006D58: 0B4FEFA7
	v_mul_f32_e64 v4, -v168, s6                                // 000000006D5C: D1050004 20000DA8
	v_mul_f32_e64 v5, -v169, s6                                // 000000006D64: D1050005 20000DA9
	v_mul_f32_e64 v6, -v170, s6                                // 000000006D6C: D1050006 20000DAA
	v_mul_f32_e64 v7, -v171, s6                                // 000000006D74: D1050007 20000DAB
	v_exp_f32_e32 v4, v4                                       // 000000006D7C: 7E084104
	v_exp_f32_e32 v5, v5                                       // 000000006D80: 7E0A4105
	v_exp_f32_e32 v6, v6                                       // 000000006D84: 7E0C4106
	v_exp_f32_e32 v7, v7                                       // 000000006D88: 7E0E4107
	v_add_f32_e64 v4, v4, 1.0                                  // 000000006D8C: D1010004 0001E504
	v_add_f32_e64 v5, v5, 1.0                                  // 000000006D94: D1010005 0001E505
	v_add_f32_e64 v6, v6, 1.0                                  // 000000006D9C: D1010006 0001E506
	v_add_f32_e64 v7, v7, 1.0                                  // 000000006DA4: D1010007 0001E507
	v_rcp_f32_e32 v4, v4                                       // 000000006DAC: 7E084504
	v_rcp_f32_e32 v5, v5                                       // 000000006DB0: 7E0A4505
	v_rcp_f32_e32 v6, v6                                       // 000000006DB4: 7E0C4506
	v_rcp_f32_e32 v7, v7                                       // 000000006DB8: 7E0E4507
	v_mul_f32_e32 v168, v168, v4                               // 000000006DBC: 0B5009A8
	v_mul_f32_e32 v169, v169, v5                               // 000000006DC0: 0B520BA9
	v_mul_f32_e32 v170, v170, v6                               // 000000006DC4: 0B540DAA
	v_mul_f32_e32 v171, v171, v7                               // 000000006DC8: 0B560FAB
	v_mul_f32_e32 v168, v168, v248                             // 000000006DCC: 0B51F1A8
	v_mul_f32_e32 v169, v169, v249                             // 000000006DD0: 0B53F3A9
	v_mul_f32_e32 v170, v170, v250                             // 000000006DD4: 0B55F5AA
	v_mul_f32_e32 v171, v171, v251                             // 000000006DD8: 0B57F7AB

0000000000006ddc <label_10F7>:
	s_cmp_eq_u32 s7, 0                                         // 000000006DDC: BF068007
	s_cbranch_scc0 label_1119                                  // 000000006DE0: BF840020
	v_and_b32_e32 v4, 15, v0                                   // 000000006DE4: 2608008F
	v_lshlrev_b32_e32 v4, 2, v4                                // 000000006DE8: 24080882
	buffer_load_dword v28, v4, s[12:15], 0 offen               // 000000006DEC: E0501000 80031C04
	v_add_u32_e32 v4, 64, v4                                   // 000000006DF4: 680808C0
	buffer_load_dword v29, v4, s[12:15], 0 offen               // 000000006DF8: E0501000 80031D04
	v_add_u32_e32 v4, 64, v4                                   // 000000006E00: 680808C0
	buffer_load_dword v30, v4, s[12:15], 0 offen               // 000000006E04: E0501000 80031E04
	v_add_u32_e32 v4, 64, v4                                   // 000000006E0C: 680808C0
	buffer_load_dword v31, v4, s[12:15], 0 offen               // 000000006E10: E0501000 80031F04
	v_add_u32_e32 v4, 64, v4                                   // 000000006E18: 680808C0
	buffer_load_dword v32, v4, s[12:15], 0 offen               // 000000006E1C: E0501000 80032004
	v_add_u32_e32 v4, 64, v4                                   // 000000006E24: 680808C0
	buffer_load_dword v33, v4, s[12:15], 0 offen               // 000000006E28: E0501000 80032104
	v_add_u32_e32 v4, 64, v4                                   // 000000006E30: 680808C0
	buffer_load_dword v34, v4, s[12:15], 0 offen               // 000000006E34: E0501000 80032204
	v_add_u32_e32 v4, 64, v4                                   // 000000006E3C: 680808C0
	buffer_load_dword v35, v4, s[12:15], 0 offen               // 000000006E40: E0501000 80032304
	v_add_u32_e32 v4, 64, v4                                   // 000000006E48: 680808C0
	buffer_load_dword v36, v4, s[12:15], 0 offen               // 000000006E4C: E0501000 80032404
	v_add_u32_e32 v4, 64, v4                                   // 000000006E54: 680808C0
	buffer_load_dword v37, v4, s[12:15], 0 offen               // 000000006E58: E0501000 80032504
	v_add_u32_e32 v4, 64, v4                                   // 000000006E60: 680808C0

0000000000006e64 <label_1119>:
	v_lshlrev_b32_e32 v4, 2, v0                                // 000000006E64: 24080082
	s_mul_i32 s60, 0x100, s7                                   // 000000006E68: 923C07FF 00000100
	v_add_u32_e32 v182, s60, v4                                // 000000006E70: 696C083C
	v_and_b32_e32 v4, 15, v0                                   // 000000006E74: 2608008F
	v_lshlrev_b32_e32 v183, 2, v4                              // 000000006E78: 256E0882
	s_waitcnt lgkmcnt(0)                                       // 000000006E7C: BF8CC07F
	s_barrier                                                  // 000000006E80: BF8A0000
	v_mov_b32_e32 v172, 0x358637bd                             // 000000006E84: 7F5802FF 358637BD
	v_max3_f32 v172, |v92|, |v93|, v172                        // 000000006E8C: D1D303AC 06B2BB5C
	v_max3_f32 v172, |v94|, |v95|, v172                        // 000000006E94: D1D303AC 06B2BF5E
	v_max3_f32 v172, |v132|, |v133|, v172                      // 000000006E9C: D1D303AC 06B30B84
	v_max3_f32 v172, |v134|, |v135|, v172                      // 000000006EA4: D1D303AC 06B30F86
	ds_write_b32 v182, v172                                    // 000000006EAC: D81A0000 0000ACB6
	s_waitcnt lgkmcnt(0)                                       // 000000006EB4: BF8CC07F
	s_barrier                                                  // 000000006EB8: BF8A0000
	ds_read_b32 v4, v183                                       // 000000006EBC: D86C0000 040000B7
	ds_read_b32 v5, v183 offset:64                             // 000000006EC4: D86C0040 050000B7
	ds_read_b32 v6, v183 offset:128                            // 000000006ECC: D86C0080 060000B7
	ds_read_b32 v7, v183 offset:192                            // 000000006ED4: D86C00C0 070000B7
	ds_read_b32 v8, v183 offset:256                            // 000000006EDC: D86C0100 080000B7
	ds_read_b32 v9, v183 offset:320                            // 000000006EE4: D86C0140 090000B7
	ds_read_b32 v10, v183 offset:384                           // 000000006EEC: D86C0180 0A0000B7
	ds_read_b32 v11, v183 offset:448                           // 000000006EF4: D86C01C0 0B0000B7
	ds_read_b32 v12, v183 offset:512                           // 000000006EFC: D86C0200 0C0000B7
	ds_read_b32 v13, v183 offset:576                           // 000000006F04: D86C0240 0D0000B7
	ds_read_b32 v14, v183 offset:640                           // 000000006F0C: D86C0280 0E0000B7
	ds_read_b32 v15, v183 offset:704                           // 000000006F14: D86C02C0 0F0000B7
	ds_read_b32 v16, v183 offset:768                           // 000000006F1C: D86C0300 100000B7
	ds_read_b32 v17, v183 offset:832                           // 000000006F24: D86C0340 110000B7
	ds_read_b32 v18, v183 offset:896                           // 000000006F2C: D86C0380 120000B7
	ds_read_b32 v19, v183 offset:960                           // 000000006F34: D86C03C0 130000B7
	s_waitcnt lgkmcnt(0)                                       // 000000006F3C: BF8CC07F
	s_barrier                                                  // 000000006F40: BF8A0000
	v_max3_f32 v172, |v4|, |v5|, v172                          // 000000006F44: D1D303AC 06B20B04
	v_max3_f32 v172, |v6|, |v7|, v172                          // 000000006F4C: D1D303AC 06B20F06
	v_max3_f32 v172, |v8|, |v9|, v172                          // 000000006F54: D1D303AC 06B21308
	v_max3_f32 v172, |v10|, |v11|, v172                        // 000000006F5C: D1D303AC 06B2170A
	v_max3_f32 v172, |v12|, |v13|, v172                        // 000000006F64: D1D303AC 06B21B0C
	v_max3_f32 v172, |v14|, |v15|, v172                        // 000000006F6C: D1D303AC 06B21F0E
	v_max3_f32 v172, |v16|, |v17|, v172                        // 000000006F74: D1D303AC 06B22310
	v_max3_f32 v172, |v18|, |v19|, v172                        // 000000006F7C: D1D303AC 06B22712
	v_rcp_f32_e32 v172, v172                                   // 000000006F84: 7F5845AC
	v_mov_b32_e32 v4, 0x43700000                               // 000000006F88: 7E0802FF 43700000
	v_mul_f32_e32 v172, v4, v172                               // 000000006F90: 0B595904
	v_mov_b32_e32 v4, v172                                     // 000000006F94: 7E0803AC
	v_mov_b32_e32 v5, v4                                       // 000000006F98: 7E0A0304
	v_pk_mul_f32 v[92:93], v[4:5], v[92:93]                    // 000000006F9C: D3B1405C 1802B904
	v_pk_mul_f32 v[94:95], v[4:5], v[94:95]                    // 000000006FA4: D3B1405E 1802BD04
	v_cvt_pk_fp8_f32 v92, v92, v93                             // 000000006FAC: D2A2005C 0002BB5C
	v_cvt_pk_fp8_f32 v92, v94, v95 op_sel:[0,0,1]              // 000000006FB4: D2A2405C 0002BF5E
	v_pk_mul_f32 v[132:133], v[4:5], v[132:133]                // 000000006FBC: D3B14084 18030904
	v_pk_mul_f32 v[134:135], v[4:5], v[134:135]                // 000000006FC4: D3B14086 18030D04
	v_cvt_pk_fp8_f32 v132, v132, v133                          // 000000006FCC: D2A20084 00030B84
	v_cvt_pk_fp8_f32 v132, v134, v135 op_sel:[0,0,1]           // 000000006FD4: D2A24084 00030F86
	v_rcp_f32_e32 v172, v172                                   // 000000006FDC: 7F5845AC
	v_mov_b32_e32 v173, 0x358637bd                             // 000000006FE0: 7F5A02FF 358637BD
	v_max3_f32 v173, |v96|, |v97|, v173                        // 000000006FE8: D1D303AD 06B6C360
	v_max3_f32 v173, |v98|, |v99|, v173                        // 000000006FF0: D1D303AD 06B6C762
	v_max3_f32 v173, |v136|, |v137|, v173                      // 000000006FF8: D1D303AD 06B71388
	v_max3_f32 v173, |v138|, |v139|, v173                      // 000000007000: D1D303AD 06B7178A
	ds_write_b32 v182, v173                                    // 000000007008: D81A0000 0000ADB6
	s_waitcnt lgkmcnt(0)                                       // 000000007010: BF8CC07F
	s_barrier                                                  // 000000007014: BF8A0000
	ds_read_b32 v4, v183                                       // 000000007018: D86C0000 040000B7
	ds_read_b32 v5, v183 offset:64                             // 000000007020: D86C0040 050000B7
	ds_read_b32 v6, v183 offset:128                            // 000000007028: D86C0080 060000B7
	ds_read_b32 v7, v183 offset:192                            // 000000007030: D86C00C0 070000B7
	ds_read_b32 v8, v183 offset:256                            // 000000007038: D86C0100 080000B7
	ds_read_b32 v9, v183 offset:320                            // 000000007040: D86C0140 090000B7
	ds_read_b32 v10, v183 offset:384                           // 000000007048: D86C0180 0A0000B7
	ds_read_b32 v11, v183 offset:448                           // 000000007050: D86C01C0 0B0000B7
	ds_read_b32 v12, v183 offset:512                           // 000000007058: D86C0200 0C0000B7
	ds_read_b32 v13, v183 offset:576                           // 000000007060: D86C0240 0D0000B7
	ds_read_b32 v14, v183 offset:640                           // 000000007068: D86C0280 0E0000B7
	ds_read_b32 v15, v183 offset:704                           // 000000007070: D86C02C0 0F0000B7
	ds_read_b32 v16, v183 offset:768                           // 000000007078: D86C0300 100000B7
	ds_read_b32 v17, v183 offset:832                           // 000000007080: D86C0340 110000B7
	ds_read_b32 v18, v183 offset:896                           // 000000007088: D86C0380 120000B7
	ds_read_b32 v19, v183 offset:960                           // 000000007090: D86C03C0 130000B7
	s_waitcnt lgkmcnt(0)                                       // 000000007098: BF8CC07F
	s_barrier                                                  // 00000000709C: BF8A0000
	v_max3_f32 v173, |v4|, |v5|, v173                          // 0000000070A0: D1D303AD 06B60B04
	v_max3_f32 v173, |v6|, |v7|, v173                          // 0000000070A8: D1D303AD 06B60F06
	v_max3_f32 v173, |v8|, |v9|, v173                          // 0000000070B0: D1D303AD 06B61308
	v_max3_f32 v173, |v10|, |v11|, v173                        // 0000000070B8: D1D303AD 06B6170A
	v_max3_f32 v173, |v12|, |v13|, v173                        // 0000000070C0: D1D303AD 06B61B0C
	v_max3_f32 v173, |v14|, |v15|, v173                        // 0000000070C8: D1D303AD 06B61F0E
	v_max3_f32 v173, |v16|, |v17|, v173                        // 0000000070D0: D1D303AD 06B62310
	v_max3_f32 v173, |v18|, |v19|, v173                        // 0000000070D8: D1D303AD 06B62712
	v_rcp_f32_e32 v173, v173                                   // 0000000070E0: 7F5A45AD
	v_mov_b32_e32 v4, 0x43700000                               // 0000000070E4: 7E0802FF 43700000
	v_mul_f32_e32 v173, v4, v173                               // 0000000070EC: 0B5B5B04
	v_mov_b32_e32 v4, v173                                     // 0000000070F0: 7E0803AD
	v_mov_b32_e32 v5, v4                                       // 0000000070F4: 7E0A0304
	v_pk_mul_f32 v[96:97], v[4:5], v[96:97]                    // 0000000070F8: D3B14060 1802C104
	v_pk_mul_f32 v[98:99], v[4:5], v[98:99]                    // 000000007100: D3B14062 1802C504
	v_cvt_pk_fp8_f32 v96, v96, v97                             // 000000007108: D2A20060 0002C360
	v_cvt_pk_fp8_f32 v96, v98, v99 op_sel:[0,0,1]              // 000000007110: D2A24060 0002C762
	v_pk_mul_f32 v[136:137], v[4:5], v[136:137]                // 000000007118: D3B14088 18031104
	v_pk_mul_f32 v[138:139], v[4:5], v[138:139]                // 000000007120: D3B1408A 18031504
	v_cvt_pk_fp8_f32 v136, v136, v137                          // 000000007128: D2A20088 00031388
	v_cvt_pk_fp8_f32 v136, v138, v139 op_sel:[0,0,1]           // 000000007130: D2A24088 0003178A
	v_rcp_f32_e32 v173, v173                                   // 000000007138: 7F5A45AD
	v_mov_b32_e32 v174, 0x358637bd                             // 00000000713C: 7F5C02FF 358637BD
	v_max3_f32 v174, |v100|, |v101|, v174                      // 000000007144: D1D303AE 06BACB64
	v_max3_f32 v174, |v102|, |v103|, v174                      // 00000000714C: D1D303AE 06BACF66
	v_max3_f32 v174, |v140|, |v141|, v174                      // 000000007154: D1D303AE 06BB1B8C
	v_max3_f32 v174, |v142|, |v143|, v174                      // 00000000715C: D1D303AE 06BB1F8E
	ds_write_b32 v182, v174                                    // 000000007164: D81A0000 0000AEB6
	s_waitcnt lgkmcnt(0)                                       // 00000000716C: BF8CC07F
	s_barrier                                                  // 000000007170: BF8A0000
	ds_read_b32 v4, v183                                       // 000000007174: D86C0000 040000B7
	ds_read_b32 v5, v183 offset:64                             // 00000000717C: D86C0040 050000B7
	ds_read_b32 v6, v183 offset:128                            // 000000007184: D86C0080 060000B7
	ds_read_b32 v7, v183 offset:192                            // 00000000718C: D86C00C0 070000B7
	ds_read_b32 v8, v183 offset:256                            // 000000007194: D86C0100 080000B7
	ds_read_b32 v9, v183 offset:320                            // 00000000719C: D86C0140 090000B7
	ds_read_b32 v10, v183 offset:384                           // 0000000071A4: D86C0180 0A0000B7
	ds_read_b32 v11, v183 offset:448                           // 0000000071AC: D86C01C0 0B0000B7
	ds_read_b32 v12, v183 offset:512                           // 0000000071B4: D86C0200 0C0000B7
	ds_read_b32 v13, v183 offset:576                           // 0000000071BC: D86C0240 0D0000B7
	ds_read_b32 v14, v183 offset:640                           // 0000000071C4: D86C0280 0E0000B7
	ds_read_b32 v15, v183 offset:704                           // 0000000071CC: D86C02C0 0F0000B7
	ds_read_b32 v16, v183 offset:768                           // 0000000071D4: D86C0300 100000B7
	ds_read_b32 v17, v183 offset:832                           // 0000000071DC: D86C0340 110000B7
	ds_read_b32 v18, v183 offset:896                           // 0000000071E4: D86C0380 120000B7
	ds_read_b32 v19, v183 offset:960                           // 0000000071EC: D86C03C0 130000B7
	s_waitcnt lgkmcnt(0)                                       // 0000000071F4: BF8CC07F
	s_barrier                                                  // 0000000071F8: BF8A0000
	v_max3_f32 v174, |v4|, |v5|, v174                          // 0000000071FC: D1D303AE 06BA0B04
	v_max3_f32 v174, |v6|, |v7|, v174                          // 000000007204: D1D303AE 06BA0F06
	v_max3_f32 v174, |v8|, |v9|, v174                          // 00000000720C: D1D303AE 06BA1308
	v_max3_f32 v174, |v10|, |v11|, v174                        // 000000007214: D1D303AE 06BA170A
	v_max3_f32 v174, |v12|, |v13|, v174                        // 00000000721C: D1D303AE 06BA1B0C
	v_max3_f32 v174, |v14|, |v15|, v174                        // 000000007224: D1D303AE 06BA1F0E
	v_max3_f32 v174, |v16|, |v17|, v174                        // 00000000722C: D1D303AE 06BA2310
	v_max3_f32 v174, |v18|, |v19|, v174                        // 000000007234: D1D303AE 06BA2712
	v_rcp_f32_e32 v174, v174                                   // 00000000723C: 7F5C45AE
	v_mov_b32_e32 v4, 0x43700000                               // 000000007240: 7E0802FF 43700000
	v_mul_f32_e32 v174, v4, v174                               // 000000007248: 0B5D5D04
	v_mov_b32_e32 v4, v174                                     // 00000000724C: 7E0803AE
	v_mov_b32_e32 v5, v4                                       // 000000007250: 7E0A0304
	v_pk_mul_f32 v[100:101], v[4:5], v[100:101]                // 000000007254: D3B14064 1802C904
	v_pk_mul_f32 v[102:103], v[4:5], v[102:103]                // 00000000725C: D3B14066 1802CD04
	v_cvt_pk_fp8_f32 v100, v100, v101                          // 000000007264: D2A20064 0002CB64
	v_cvt_pk_fp8_f32 v100, v102, v103 op_sel:[0,0,1]           // 00000000726C: D2A24064 0002CF66
	v_pk_mul_f32 v[140:141], v[4:5], v[140:141]                // 000000007274: D3B1408C 18031904
	v_pk_mul_f32 v[142:143], v[4:5], v[142:143]                // 00000000727C: D3B1408E 18031D04
	v_cvt_pk_fp8_f32 v140, v140, v141                          // 000000007284: D2A2008C 00031B8C
	v_cvt_pk_fp8_f32 v140, v142, v143 op_sel:[0,0,1]           // 00000000728C: D2A2408C 00031F8E
	v_rcp_f32_e32 v174, v174                                   // 000000007294: 7F5C45AE
	v_mov_b32_e32 v175, 0x358637bd                             // 000000007298: 7F5E02FF 358637BD
	v_max3_f32 v175, |v104|, |v105|, v175                      // 0000000072A0: D1D303AF 06BED368
	v_max3_f32 v175, |v106|, |v107|, v175                      // 0000000072A8: D1D303AF 06BED76A
	v_max3_f32 v175, |v144|, |v145|, v175                      // 0000000072B0: D1D303AF 06BF2390
	v_max3_f32 v175, |v146|, |v147|, v175                      // 0000000072B8: D1D303AF 06BF2792
	ds_write_b32 v182, v175                                    // 0000000072C0: D81A0000 0000AFB6
	s_waitcnt lgkmcnt(0)                                       // 0000000072C8: BF8CC07F
	s_barrier                                                  // 0000000072CC: BF8A0000
	ds_read_b32 v4, v183                                       // 0000000072D0: D86C0000 040000B7
	ds_read_b32 v5, v183 offset:64                             // 0000000072D8: D86C0040 050000B7
	ds_read_b32 v6, v183 offset:128                            // 0000000072E0: D86C0080 060000B7
	ds_read_b32 v7, v183 offset:192                            // 0000000072E8: D86C00C0 070000B7
	ds_read_b32 v8, v183 offset:256                            // 0000000072F0: D86C0100 080000B7
	ds_read_b32 v9, v183 offset:320                            // 0000000072F8: D86C0140 090000B7
	ds_read_b32 v10, v183 offset:384                           // 000000007300: D86C0180 0A0000B7
	ds_read_b32 v11, v183 offset:448                           // 000000007308: D86C01C0 0B0000B7
	ds_read_b32 v12, v183 offset:512                           // 000000007310: D86C0200 0C0000B7
	ds_read_b32 v13, v183 offset:576                           // 000000007318: D86C0240 0D0000B7
	ds_read_b32 v14, v183 offset:640                           // 000000007320: D86C0280 0E0000B7
	ds_read_b32 v15, v183 offset:704                           // 000000007328: D86C02C0 0F0000B7
	ds_read_b32 v16, v183 offset:768                           // 000000007330: D86C0300 100000B7
	ds_read_b32 v17, v183 offset:832                           // 000000007338: D86C0340 110000B7
	ds_read_b32 v18, v183 offset:896                           // 000000007340: D86C0380 120000B7
	ds_read_b32 v19, v183 offset:960                           // 000000007348: D86C03C0 130000B7
	s_waitcnt lgkmcnt(0)                                       // 000000007350: BF8CC07F
	s_barrier                                                  // 000000007354: BF8A0000
	v_max3_f32 v175, |v4|, |v5|, v175                          // 000000007358: D1D303AF 06BE0B04
	v_max3_f32 v175, |v6|, |v7|, v175                          // 000000007360: D1D303AF 06BE0F06
	v_max3_f32 v175, |v8|, |v9|, v175                          // 000000007368: D1D303AF 06BE1308
	v_max3_f32 v175, |v10|, |v11|, v175                        // 000000007370: D1D303AF 06BE170A
	v_max3_f32 v175, |v12|, |v13|, v175                        // 000000007378: D1D303AF 06BE1B0C
	v_max3_f32 v175, |v14|, |v15|, v175                        // 000000007380: D1D303AF 06BE1F0E
	v_max3_f32 v175, |v16|, |v17|, v175                        // 000000007388: D1D303AF 06BE2310
	v_max3_f32 v175, |v18|, |v19|, v175                        // 000000007390: D1D303AF 06BE2712
	v_rcp_f32_e32 v175, v175                                   // 000000007398: 7F5E45AF
	v_mov_b32_e32 v4, 0x43700000                               // 00000000739C: 7E0802FF 43700000
	v_mul_f32_e32 v175, v4, v175                               // 0000000073A4: 0B5F5F04
	v_mov_b32_e32 v4, v175                                     // 0000000073A8: 7E0803AF
	v_mov_b32_e32 v5, v4                                       // 0000000073AC: 7E0A0304
	v_pk_mul_f32 v[104:105], v[4:5], v[104:105]                // 0000000073B0: D3B14068 1802D104
	v_pk_mul_f32 v[106:107], v[4:5], v[106:107]                // 0000000073B8: D3B1406A 1802D504
	v_cvt_pk_fp8_f32 v104, v104, v105                          // 0000000073C0: D2A20068 0002D368
	v_cvt_pk_fp8_f32 v104, v106, v107 op_sel:[0,0,1]           // 0000000073C8: D2A24068 0002D76A
	v_pk_mul_f32 v[144:145], v[4:5], v[144:145]                // 0000000073D0: D3B14090 18032104
	v_pk_mul_f32 v[146:147], v[4:5], v[146:147]                // 0000000073D8: D3B14092 18032504
	v_cvt_pk_fp8_f32 v144, v144, v145                          // 0000000073E0: D2A20090 00032390
	v_cvt_pk_fp8_f32 v144, v146, v147 op_sel:[0,0,1]           // 0000000073E8: D2A24090 00032792
	v_rcp_f32_e32 v175, v175                                   // 0000000073F0: 7F5E45AF
	v_mov_b32_e32 v176, 0x358637bd                             // 0000000073F4: 7F6002FF 358637BD
	v_max3_f32 v176, |v108|, |v109|, v176                      // 0000000073FC: D1D303B0 06C2DB6C
	v_max3_f32 v176, |v110|, |v111|, v176                      // 000000007404: D1D303B0 06C2DF6E
	v_max3_f32 v176, |v148|, |v149|, v176                      // 00000000740C: D1D303B0 06C32B94
	v_max3_f32 v176, |v150|, |v151|, v176                      // 000000007414: D1D303B0 06C32F96
	ds_write_b32 v182, v176                                    // 00000000741C: D81A0000 0000B0B6
	s_waitcnt lgkmcnt(0)                                       // 000000007424: BF8CC07F
	s_barrier                                                  // 000000007428: BF8A0000
	ds_read_b32 v4, v183                                       // 00000000742C: D86C0000 040000B7
	ds_read_b32 v5, v183 offset:64                             // 000000007434: D86C0040 050000B7
	ds_read_b32 v6, v183 offset:128                            // 00000000743C: D86C0080 060000B7
	ds_read_b32 v7, v183 offset:192                            // 000000007444: D86C00C0 070000B7
	ds_read_b32 v8, v183 offset:256                            // 00000000744C: D86C0100 080000B7
	ds_read_b32 v9, v183 offset:320                            // 000000007454: D86C0140 090000B7
	ds_read_b32 v10, v183 offset:384                           // 00000000745C: D86C0180 0A0000B7
	ds_read_b32 v11, v183 offset:448                           // 000000007464: D86C01C0 0B0000B7
	ds_read_b32 v12, v183 offset:512                           // 00000000746C: D86C0200 0C0000B7
	ds_read_b32 v13, v183 offset:576                           // 000000007474: D86C0240 0D0000B7
	ds_read_b32 v14, v183 offset:640                           // 00000000747C: D86C0280 0E0000B7
	ds_read_b32 v15, v183 offset:704                           // 000000007484: D86C02C0 0F0000B7
	ds_read_b32 v16, v183 offset:768                           // 00000000748C: D86C0300 100000B7
	ds_read_b32 v17, v183 offset:832                           // 000000007494: D86C0340 110000B7
	ds_read_b32 v18, v183 offset:896                           // 00000000749C: D86C0380 120000B7
	ds_read_b32 v19, v183 offset:960                           // 0000000074A4: D86C03C0 130000B7
	s_waitcnt lgkmcnt(0)                                       // 0000000074AC: BF8CC07F
	s_barrier                                                  // 0000000074B0: BF8A0000
	v_max3_f32 v176, |v4|, |v5|, v176                          // 0000000074B4: D1D303B0 06C20B04
	v_max3_f32 v176, |v6|, |v7|, v176                          // 0000000074BC: D1D303B0 06C20F06
	v_max3_f32 v176, |v8|, |v9|, v176                          // 0000000074C4: D1D303B0 06C21308
	v_max3_f32 v176, |v10|, |v11|, v176                        // 0000000074CC: D1D303B0 06C2170A
	v_max3_f32 v176, |v12|, |v13|, v176                        // 0000000074D4: D1D303B0 06C21B0C
	v_max3_f32 v176, |v14|, |v15|, v176                        // 0000000074DC: D1D303B0 06C21F0E
	v_max3_f32 v176, |v16|, |v17|, v176                        // 0000000074E4: D1D303B0 06C22310
	v_max3_f32 v176, |v18|, |v19|, v176                        // 0000000074EC: D1D303B0 06C22712
	v_rcp_f32_e32 v176, v176                                   // 0000000074F4: 7F6045B0
	v_mov_b32_e32 v4, 0x43700000                               // 0000000074F8: 7E0802FF 43700000
	v_mul_f32_e32 v176, v4, v176                               // 000000007500: 0B616104
	v_mov_b32_e32 v4, v176                                     // 000000007504: 7E0803B0
	v_mov_b32_e32 v5, v4                                       // 000000007508: 7E0A0304
	v_pk_mul_f32 v[108:109], v[4:5], v[108:109]                // 00000000750C: D3B1406C 1802D904
	v_pk_mul_f32 v[110:111], v[4:5], v[110:111]                // 000000007514: D3B1406E 1802DD04
	v_cvt_pk_fp8_f32 v108, v108, v109                          // 00000000751C: D2A2006C 0002DB6C
	v_cvt_pk_fp8_f32 v108, v110, v111 op_sel:[0,0,1]           // 000000007524: D2A2406C 0002DF6E
	v_pk_mul_f32 v[148:149], v[4:5], v[148:149]                // 00000000752C: D3B14094 18032904
	v_pk_mul_f32 v[150:151], v[4:5], v[150:151]                // 000000007534: D3B14096 18032D04
	v_cvt_pk_fp8_f32 v148, v148, v149                          // 00000000753C: D2A20094 00032B94
	v_cvt_pk_fp8_f32 v148, v150, v151 op_sel:[0,0,1]           // 000000007544: D2A24094 00032F96
	v_rcp_f32_e32 v176, v176                                   // 00000000754C: 7F6045B0
	v_mov_b32_e32 v177, 0x358637bd                             // 000000007550: 7F6202FF 358637BD
	v_max3_f32 v177, |v112|, |v113|, v177                      // 000000007558: D1D303B1 06C6E370
	v_max3_f32 v177, |v114|, |v115|, v177                      // 000000007560: D1D303B1 06C6E772
	v_max3_f32 v177, |v152|, |v153|, v177                      // 000000007568: D1D303B1 06C73398
	v_max3_f32 v177, |v154|, |v155|, v177                      // 000000007570: D1D303B1 06C7379A
	ds_write_b32 v182, v177                                    // 000000007578: D81A0000 0000B1B6
	s_waitcnt lgkmcnt(0)                                       // 000000007580: BF8CC07F
	s_barrier                                                  // 000000007584: BF8A0000
	ds_read_b32 v4, v183                                       // 000000007588: D86C0000 040000B7
	ds_read_b32 v5, v183 offset:64                             // 000000007590: D86C0040 050000B7
	ds_read_b32 v6, v183 offset:128                            // 000000007598: D86C0080 060000B7
	ds_read_b32 v7, v183 offset:192                            // 0000000075A0: D86C00C0 070000B7
	ds_read_b32 v8, v183 offset:256                            // 0000000075A8: D86C0100 080000B7
	ds_read_b32 v9, v183 offset:320                            // 0000000075B0: D86C0140 090000B7
	ds_read_b32 v10, v183 offset:384                           // 0000000075B8: D86C0180 0A0000B7
	ds_read_b32 v11, v183 offset:448                           // 0000000075C0: D86C01C0 0B0000B7
	ds_read_b32 v12, v183 offset:512                           // 0000000075C8: D86C0200 0C0000B7
	ds_read_b32 v13, v183 offset:576                           // 0000000075D0: D86C0240 0D0000B7
	ds_read_b32 v14, v183 offset:640                           // 0000000075D8: D86C0280 0E0000B7
	ds_read_b32 v15, v183 offset:704                           // 0000000075E0: D86C02C0 0F0000B7
	ds_read_b32 v16, v183 offset:768                           // 0000000075E8: D86C0300 100000B7
	ds_read_b32 v17, v183 offset:832                           // 0000000075F0: D86C0340 110000B7
	ds_read_b32 v18, v183 offset:896                           // 0000000075F8: D86C0380 120000B7
	ds_read_b32 v19, v183 offset:960                           // 000000007600: D86C03C0 130000B7
	s_waitcnt lgkmcnt(0)                                       // 000000007608: BF8CC07F
	s_barrier                                                  // 00000000760C: BF8A0000
	v_max3_f32 v177, |v4|, |v5|, v177                          // 000000007610: D1D303B1 06C60B04
	v_max3_f32 v177, |v6|, |v7|, v177                          // 000000007618: D1D303B1 06C60F06
	v_max3_f32 v177, |v8|, |v9|, v177                          // 000000007620: D1D303B1 06C61308
	v_max3_f32 v177, |v10|, |v11|, v177                        // 000000007628: D1D303B1 06C6170A
	v_max3_f32 v177, |v12|, |v13|, v177                        // 000000007630: D1D303B1 06C61B0C
	v_max3_f32 v177, |v14|, |v15|, v177                        // 000000007638: D1D303B1 06C61F0E
	v_max3_f32 v177, |v16|, |v17|, v177                        // 000000007640: D1D303B1 06C62310
	v_max3_f32 v177, |v18|, |v19|, v177                        // 000000007648: D1D303B1 06C62712
	v_rcp_f32_e32 v177, v177                                   // 000000007650: 7F6245B1
	v_mov_b32_e32 v4, 0x43700000                               // 000000007654: 7E0802FF 43700000
	v_mul_f32_e32 v177, v4, v177                               // 00000000765C: 0B636304
	v_mov_b32_e32 v4, v177                                     // 000000007660: 7E0803B1
	v_mov_b32_e32 v5, v4                                       // 000000007664: 7E0A0304
	v_pk_mul_f32 v[112:113], v[4:5], v[112:113]                // 000000007668: D3B14070 1802E104
	v_pk_mul_f32 v[114:115], v[4:5], v[114:115]                // 000000007670: D3B14072 1802E504
	v_cvt_pk_fp8_f32 v112, v112, v113                          // 000000007678: D2A20070 0002E370
	v_cvt_pk_fp8_f32 v112, v114, v115 op_sel:[0,0,1]           // 000000007680: D2A24070 0002E772
	v_pk_mul_f32 v[152:153], v[4:5], v[152:153]                // 000000007688: D3B14098 18033104
	v_pk_mul_f32 v[154:155], v[4:5], v[154:155]                // 000000007690: D3B1409A 18033504
	v_cvt_pk_fp8_f32 v152, v152, v153                          // 000000007698: D2A20098 00033398
	v_cvt_pk_fp8_f32 v152, v154, v155 op_sel:[0,0,1]           // 0000000076A0: D2A24098 0003379A
	v_rcp_f32_e32 v177, v177                                   // 0000000076A8: 7F6245B1
	v_mov_b32_e32 v178, 0x358637bd                             // 0000000076AC: 7F6402FF 358637BD
	v_max3_f32 v178, |v116|, |v117|, v178                      // 0000000076B4: D1D303B2 06CAEB74
	v_max3_f32 v178, |v118|, |v119|, v178                      // 0000000076BC: D1D303B2 06CAEF76
	v_max3_f32 v178, |v156|, |v157|, v178                      // 0000000076C4: D1D303B2 06CB3B9C
	v_max3_f32 v178, |v158|, |v159|, v178                      // 0000000076CC: D1D303B2 06CB3F9E
	ds_write_b32 v182, v178                                    // 0000000076D4: D81A0000 0000B2B6
	s_waitcnt lgkmcnt(0)                                       // 0000000076DC: BF8CC07F
	s_barrier                                                  // 0000000076E0: BF8A0000
	ds_read_b32 v4, v183                                       // 0000000076E4: D86C0000 040000B7
	ds_read_b32 v5, v183 offset:64                             // 0000000076EC: D86C0040 050000B7
	ds_read_b32 v6, v183 offset:128                            // 0000000076F4: D86C0080 060000B7
	ds_read_b32 v7, v183 offset:192                            // 0000000076FC: D86C00C0 070000B7
	ds_read_b32 v8, v183 offset:256                            // 000000007704: D86C0100 080000B7
	ds_read_b32 v9, v183 offset:320                            // 00000000770C: D86C0140 090000B7
	ds_read_b32 v10, v183 offset:384                           // 000000007714: D86C0180 0A0000B7
	ds_read_b32 v11, v183 offset:448                           // 00000000771C: D86C01C0 0B0000B7
	ds_read_b32 v12, v183 offset:512                           // 000000007724: D86C0200 0C0000B7
	ds_read_b32 v13, v183 offset:576                           // 00000000772C: D86C0240 0D0000B7
	ds_read_b32 v14, v183 offset:640                           // 000000007734: D86C0280 0E0000B7
	ds_read_b32 v15, v183 offset:704                           // 00000000773C: D86C02C0 0F0000B7
	ds_read_b32 v16, v183 offset:768                           // 000000007744: D86C0300 100000B7
	ds_read_b32 v17, v183 offset:832                           // 00000000774C: D86C0340 110000B7
	ds_read_b32 v18, v183 offset:896                           // 000000007754: D86C0380 120000B7
	ds_read_b32 v19, v183 offset:960                           // 00000000775C: D86C03C0 130000B7
	s_waitcnt lgkmcnt(0)                                       // 000000007764: BF8CC07F
	s_barrier                                                  // 000000007768: BF8A0000
	v_max3_f32 v178, |v4|, |v5|, v178                          // 00000000776C: D1D303B2 06CA0B04
	v_max3_f32 v178, |v6|, |v7|, v178                          // 000000007774: D1D303B2 06CA0F06
	v_max3_f32 v178, |v8|, |v9|, v178                          // 00000000777C: D1D303B2 06CA1308
	v_max3_f32 v178, |v10|, |v11|, v178                        // 000000007784: D1D303B2 06CA170A
	v_max3_f32 v178, |v12|, |v13|, v178                        // 00000000778C: D1D303B2 06CA1B0C
	v_max3_f32 v178, |v14|, |v15|, v178                        // 000000007794: D1D303B2 06CA1F0E
	v_max3_f32 v178, |v16|, |v17|, v178                        // 00000000779C: D1D303B2 06CA2310
	v_max3_f32 v178, |v18|, |v19|, v178                        // 0000000077A4: D1D303B2 06CA2712
	v_rcp_f32_e32 v178, v178                                   // 0000000077AC: 7F6445B2
	v_mov_b32_e32 v4, 0x43700000                               // 0000000077B0: 7E0802FF 43700000
	v_mul_f32_e32 v178, v4, v178                               // 0000000077B8: 0B656504
	v_mov_b32_e32 v4, v178                                     // 0000000077BC: 7E0803B2
	v_mov_b32_e32 v5, v4                                       // 0000000077C0: 7E0A0304
	v_pk_mul_f32 v[116:117], v[4:5], v[116:117]                // 0000000077C4: D3B14074 1802E904
	v_pk_mul_f32 v[118:119], v[4:5], v[118:119]                // 0000000077CC: D3B14076 1802ED04
	v_cvt_pk_fp8_f32 v116, v116, v117                          // 0000000077D4: D2A20074 0002EB74
	v_cvt_pk_fp8_f32 v116, v118, v119 op_sel:[0,0,1]           // 0000000077DC: D2A24074 0002EF76
	v_pk_mul_f32 v[156:157], v[4:5], v[156:157]                // 0000000077E4: D3B1409C 18033904
	v_pk_mul_f32 v[158:159], v[4:5], v[158:159]                // 0000000077EC: D3B1409E 18033D04
	v_cvt_pk_fp8_f32 v156, v156, v157                          // 0000000077F4: D2A2009C 00033B9C
	v_cvt_pk_fp8_f32 v156, v158, v159 op_sel:[0,0,1]           // 0000000077FC: D2A2409C 00033F9E
	v_rcp_f32_e32 v178, v178                                   // 000000007804: 7F6445B2
	v_mov_b32_e32 v179, 0x358637bd                             // 000000007808: 7F6602FF 358637BD
	v_max3_f32 v179, |v120|, |v121|, v179                      // 000000007810: D1D303B3 06CEF378
	v_max3_f32 v179, |v122|, |v123|, v179                      // 000000007818: D1D303B3 06CEF77A
	v_max3_f32 v179, |v160|, |v161|, v179                      // 000000007820: D1D303B3 06CF43A0
	v_max3_f32 v179, |v162|, |v163|, v179                      // 000000007828: D1D303B3 06CF47A2
	ds_write_b32 v182, v179                                    // 000000007830: D81A0000 0000B3B6
	s_waitcnt lgkmcnt(0)                                       // 000000007838: BF8CC07F
	s_barrier                                                  // 00000000783C: BF8A0000
	ds_read_b32 v4, v183                                       // 000000007840: D86C0000 040000B7
	ds_read_b32 v5, v183 offset:64                             // 000000007848: D86C0040 050000B7
	ds_read_b32 v6, v183 offset:128                            // 000000007850: D86C0080 060000B7
	ds_read_b32 v7, v183 offset:192                            // 000000007858: D86C00C0 070000B7
	ds_read_b32 v8, v183 offset:256                            // 000000007860: D86C0100 080000B7
	ds_read_b32 v9, v183 offset:320                            // 000000007868: D86C0140 090000B7
	ds_read_b32 v10, v183 offset:384                           // 000000007870: D86C0180 0A0000B7
	ds_read_b32 v11, v183 offset:448                           // 000000007878: D86C01C0 0B0000B7
	ds_read_b32 v12, v183 offset:512                           // 000000007880: D86C0200 0C0000B7
	ds_read_b32 v13, v183 offset:576                           // 000000007888: D86C0240 0D0000B7
	ds_read_b32 v14, v183 offset:640                           // 000000007890: D86C0280 0E0000B7
	ds_read_b32 v15, v183 offset:704                           // 000000007898: D86C02C0 0F0000B7
	ds_read_b32 v16, v183 offset:768                           // 0000000078A0: D86C0300 100000B7
	ds_read_b32 v17, v183 offset:832                           // 0000000078A8: D86C0340 110000B7
	ds_read_b32 v18, v183 offset:896                           // 0000000078B0: D86C0380 120000B7
	ds_read_b32 v19, v183 offset:960                           // 0000000078B8: D86C03C0 130000B7
	s_waitcnt lgkmcnt(0)                                       // 0000000078C0: BF8CC07F
	s_barrier                                                  // 0000000078C4: BF8A0000
	v_max3_f32 v179, |v4|, |v5|, v179                          // 0000000078C8: D1D303B3 06CE0B04
	v_max3_f32 v179, |v6|, |v7|, v179                          // 0000000078D0: D1D303B3 06CE0F06
	v_max3_f32 v179, |v8|, |v9|, v179                          // 0000000078D8: D1D303B3 06CE1308
	v_max3_f32 v179, |v10|, |v11|, v179                        // 0000000078E0: D1D303B3 06CE170A
	v_max3_f32 v179, |v12|, |v13|, v179                        // 0000000078E8: D1D303B3 06CE1B0C
	v_max3_f32 v179, |v14|, |v15|, v179                        // 0000000078F0: D1D303B3 06CE1F0E
	v_max3_f32 v179, |v16|, |v17|, v179                        // 0000000078F8: D1D303B3 06CE2310
	v_max3_f32 v179, |v18|, |v19|, v179                        // 000000007900: D1D303B3 06CE2712
	v_rcp_f32_e32 v179, v179                                   // 000000007908: 7F6645B3
	v_mov_b32_e32 v4, 0x43700000                               // 00000000790C: 7E0802FF 43700000
	v_mul_f32_e32 v179, v4, v179                               // 000000007914: 0B676704
	v_mov_b32_e32 v4, v179                                     // 000000007918: 7E0803B3
	v_mov_b32_e32 v5, v4                                       // 00000000791C: 7E0A0304
	v_pk_mul_f32 v[120:121], v[4:5], v[120:121]                // 000000007920: D3B14078 1802F104
	v_pk_mul_f32 v[122:123], v[4:5], v[122:123]                // 000000007928: D3B1407A 1802F504
	v_cvt_pk_fp8_f32 v120, v120, v121                          // 000000007930: D2A20078 0002F378
	v_cvt_pk_fp8_f32 v120, v122, v123 op_sel:[0,0,1]           // 000000007938: D2A24078 0002F77A
	v_pk_mul_f32 v[160:161], v[4:5], v[160:161]                // 000000007940: D3B140A0 18034104
	v_pk_mul_f32 v[162:163], v[4:5], v[162:163]                // 000000007948: D3B140A2 18034504
	v_cvt_pk_fp8_f32 v160, v160, v161                          // 000000007950: D2A200A0 000343A0
	v_cvt_pk_fp8_f32 v160, v162, v163 op_sel:[0,0,1]           // 000000007958: D2A240A0 000347A2
	v_rcp_f32_e32 v179, v179                                   // 000000007960: 7F6645B3
	v_mov_b32_e32 v180, 0x358637bd                             // 000000007964: 7F6802FF 358637BD
	v_max3_f32 v180, |v124|, |v125|, v180                      // 00000000796C: D1D303B4 06D2FB7C
	v_max3_f32 v180, |v126|, |v127|, v180                      // 000000007974: D1D303B4 06D2FF7E
	v_max3_f32 v180, |v164|, |v165|, v180                      // 00000000797C: D1D303B4 06D34BA4
	v_max3_f32 v180, |v166|, |v167|, v180                      // 000000007984: D1D303B4 06D34FA6
	ds_write_b32 v182, v180                                    // 00000000798C: D81A0000 0000B4B6
	s_waitcnt lgkmcnt(0)                                       // 000000007994: BF8CC07F
	s_barrier                                                  // 000000007998: BF8A0000
	ds_read_b32 v4, v183                                       // 00000000799C: D86C0000 040000B7
	ds_read_b32 v5, v183 offset:64                             // 0000000079A4: D86C0040 050000B7
	ds_read_b32 v6, v183 offset:128                            // 0000000079AC: D86C0080 060000B7
	ds_read_b32 v7, v183 offset:192                            // 0000000079B4: D86C00C0 070000B7
	ds_read_b32 v8, v183 offset:256                            // 0000000079BC: D86C0100 080000B7
	ds_read_b32 v9, v183 offset:320                            // 0000000079C4: D86C0140 090000B7
	ds_read_b32 v10, v183 offset:384                           // 0000000079CC: D86C0180 0A0000B7
	ds_read_b32 v11, v183 offset:448                           // 0000000079D4: D86C01C0 0B0000B7
	ds_read_b32 v12, v183 offset:512                           // 0000000079DC: D86C0200 0C0000B7
	ds_read_b32 v13, v183 offset:576                           // 0000000079E4: D86C0240 0D0000B7
	ds_read_b32 v14, v183 offset:640                           // 0000000079EC: D86C0280 0E0000B7
	ds_read_b32 v15, v183 offset:704                           // 0000000079F4: D86C02C0 0F0000B7
	ds_read_b32 v16, v183 offset:768                           // 0000000079FC: D86C0300 100000B7
	ds_read_b32 v17, v183 offset:832                           // 000000007A04: D86C0340 110000B7
	ds_read_b32 v18, v183 offset:896                           // 000000007A0C: D86C0380 120000B7
	ds_read_b32 v19, v183 offset:960                           // 000000007A14: D86C03C0 130000B7
	s_waitcnt lgkmcnt(0)                                       // 000000007A1C: BF8CC07F
	s_barrier                                                  // 000000007A20: BF8A0000
	v_max3_f32 v180, |v4|, |v5|, v180                          // 000000007A24: D1D303B4 06D20B04
	v_max3_f32 v180, |v6|, |v7|, v180                          // 000000007A2C: D1D303B4 06D20F06
	v_max3_f32 v180, |v8|, |v9|, v180                          // 000000007A34: D1D303B4 06D21308
	v_max3_f32 v180, |v10|, |v11|, v180                        // 000000007A3C: D1D303B4 06D2170A
	v_max3_f32 v180, |v12|, |v13|, v180                        // 000000007A44: D1D303B4 06D21B0C
	v_max3_f32 v180, |v14|, |v15|, v180                        // 000000007A4C: D1D303B4 06D21F0E
	v_max3_f32 v180, |v16|, |v17|, v180                        // 000000007A54: D1D303B4 06D22310
	v_max3_f32 v180, |v18|, |v19|, v180                        // 000000007A5C: D1D303B4 06D22712
	v_rcp_f32_e32 v180, v180                                   // 000000007A64: 7F6845B4
	v_mov_b32_e32 v4, 0x43700000                               // 000000007A68: 7E0802FF 43700000
	v_mul_f32_e32 v180, v4, v180                               // 000000007A70: 0B696904
	v_mov_b32_e32 v4, v180                                     // 000000007A74: 7E0803B4
	v_mov_b32_e32 v5, v4                                       // 000000007A78: 7E0A0304
	v_pk_mul_f32 v[124:125], v[4:5], v[124:125]                // 000000007A7C: D3B1407C 1802F904
	v_pk_mul_f32 v[126:127], v[4:5], v[126:127]                // 000000007A84: D3B1407E 1802FD04
	v_cvt_pk_fp8_f32 v124, v124, v125                          // 000000007A8C: D2A2007C 0002FB7C
	v_cvt_pk_fp8_f32 v124, v126, v127 op_sel:[0,0,1]           // 000000007A94: D2A2407C 0002FF7E
	v_pk_mul_f32 v[164:165], v[4:5], v[164:165]                // 000000007A9C: D3B140A4 18034904
	v_pk_mul_f32 v[166:167], v[4:5], v[166:167]                // 000000007AA4: D3B140A6 18034D04
	v_cvt_pk_fp8_f32 v164, v164, v165                          // 000000007AAC: D2A200A4 00034BA4
	v_cvt_pk_fp8_f32 v164, v166, v167 op_sel:[0,0,1]           // 000000007AB4: D2A240A4 00034FA6
	v_rcp_f32_e32 v180, v180                                   // 000000007ABC: 7F6845B4
	v_mov_b32_e32 v181, 0x358637bd                             // 000000007AC0: 7F6A02FF 358637BD
	v_max3_f32 v181, |v128|, |v129|, v181                      // 000000007AC8: D1D303B5 06D70380
	v_max3_f32 v181, |v130|, |v131|, v181                      // 000000007AD0: D1D303B5 06D70782
	v_max3_f32 v181, |v168|, |v169|, v181                      // 000000007AD8: D1D303B5 06D753A8
	v_max3_f32 v181, |v170|, |v171|, v181                      // 000000007AE0: D1D303B5 06D757AA
	ds_write_b32 v182, v181                                    // 000000007AE8: D81A0000 0000B5B6
	s_waitcnt lgkmcnt(0)                                       // 000000007AF0: BF8CC07F
	s_barrier                                                  // 000000007AF4: BF8A0000
	ds_read_b32 v4, v183                                       // 000000007AF8: D86C0000 040000B7
	ds_read_b32 v5, v183 offset:64                             // 000000007B00: D86C0040 050000B7
	ds_read_b32 v6, v183 offset:128                            // 000000007B08: D86C0080 060000B7
	ds_read_b32 v7, v183 offset:192                            // 000000007B10: D86C00C0 070000B7
	ds_read_b32 v8, v183 offset:256                            // 000000007B18: D86C0100 080000B7
	ds_read_b32 v9, v183 offset:320                            // 000000007B20: D86C0140 090000B7
	ds_read_b32 v10, v183 offset:384                           // 000000007B28: D86C0180 0A0000B7
	ds_read_b32 v11, v183 offset:448                           // 000000007B30: D86C01C0 0B0000B7
	ds_read_b32 v12, v183 offset:512                           // 000000007B38: D86C0200 0C0000B7
	ds_read_b32 v13, v183 offset:576                           // 000000007B40: D86C0240 0D0000B7
	ds_read_b32 v14, v183 offset:640                           // 000000007B48: D86C0280 0E0000B7
	ds_read_b32 v15, v183 offset:704                           // 000000007B50: D86C02C0 0F0000B7
	ds_read_b32 v16, v183 offset:768                           // 000000007B58: D86C0300 100000B7
	ds_read_b32 v17, v183 offset:832                           // 000000007B60: D86C0340 110000B7
	ds_read_b32 v18, v183 offset:896                           // 000000007B68: D86C0380 120000B7
	ds_read_b32 v19, v183 offset:960                           // 000000007B70: D86C03C0 130000B7
	s_waitcnt lgkmcnt(0)                                       // 000000007B78: BF8CC07F
	s_barrier                                                  // 000000007B7C: BF8A0000
	v_max3_f32 v181, |v4|, |v5|, v181                          // 000000007B80: D1D303B5 06D60B04
	v_max3_f32 v181, |v6|, |v7|, v181                          // 000000007B88: D1D303B5 06D60F06
	v_max3_f32 v181, |v8|, |v9|, v181                          // 000000007B90: D1D303B5 06D61308
	v_max3_f32 v181, |v10|, |v11|, v181                        // 000000007B98: D1D303B5 06D6170A
	v_max3_f32 v181, |v12|, |v13|, v181                        // 000000007BA0: D1D303B5 06D61B0C
	v_max3_f32 v181, |v14|, |v15|, v181                        // 000000007BA8: D1D303B5 06D61F0E
	v_max3_f32 v181, |v16|, |v17|, v181                        // 000000007BB0: D1D303B5 06D62310
	v_max3_f32 v181, |v18|, |v19|, v181                        // 000000007BB8: D1D303B5 06D62712
	v_rcp_f32_e32 v181, v181                                   // 000000007BC0: 7F6A45B5
	v_mov_b32_e32 v4, 0x43700000                               // 000000007BC4: 7E0802FF 43700000
	v_mul_f32_e32 v181, v4, v181                               // 000000007BCC: 0B6B6B04
	v_mov_b32_e32 v4, v181                                     // 000000007BD0: 7E0803B5
	v_mov_b32_e32 v5, v4                                       // 000000007BD4: 7E0A0304
	v_pk_mul_f32 v[128:129], v[4:5], v[128:129]                // 000000007BD8: D3B14080 18030104
	v_pk_mul_f32 v[130:131], v[4:5], v[130:131]                // 000000007BE0: D3B14082 18030504
	v_cvt_pk_fp8_f32 v128, v128, v129                          // 000000007BE8: D2A20080 00030380
	v_cvt_pk_fp8_f32 v128, v130, v131 op_sel:[0,0,1]           // 000000007BF0: D2A24080 00030782
	v_pk_mul_f32 v[168:169], v[4:5], v[168:169]                // 000000007BF8: D3B140A8 18035104
	v_pk_mul_f32 v[170:171], v[4:5], v[170:171]                // 000000007C00: D3B140AA 18035504
	v_cvt_pk_fp8_f32 v168, v168, v169                          // 000000007C08: D2A200A8 000353A8
	v_cvt_pk_fp8_f32 v168, v170, v171 op_sel:[0,0,1]           // 000000007C10: D2A240A8 000357AA
	v_rcp_f32_e32 v181, v181                                   // 000000007C18: 7F6A45B5
	v_lshrrev_b32_e32 v4, 5, v0                                // 000000007C1C: 20080085
	v_mul_lo_u32 v20, 34, v4                                   // 000000007C20: D2850014 000208A2
	v_and_b32_e32 v4, 31, v0                                   // 000000007C28: 2608009F
	v_lshrrev_b32_e32 v5, 4, v4                                // 000000007C2C: 200A0884
	v_add_u32_e32 v20, v5, v20                                 // 000000007C30: 68282905
	v_and_b32_e32 v4, 15, v0                                   // 000000007C34: 2608008F
	v_mul_lo_u32 v5, 2, v4                                     // 000000007C38: D2850005 00020882
	v_add_u32_e32 v20, v5, v20                                 // 000000007C40: 68282905
	s_mul_i32 s60, s7, 0x44                                    // 000000007C44: 923CFF07 00000044
	v_add_u32_e32 v20, s60, v20                                // 000000007C4C: 6828283C
	v_lshlrev_b32_e32 v20, 2, v20                              // 000000007C50: 24282882
	ds_write_b32 v20, v92                                      // 000000007C54: D81A0000 00005C14
	ds_write_b32 v20, v96 offset:2176                          // 000000007C5C: D81A0880 00006014
	ds_write_b32 v20, v100 offset:4352                         // 000000007C64: D81A1100 00006414
	ds_write_b32 v20, v104 offset:6528                         // 000000007C6C: D81A1980 00006814
	ds_write_b32 v20, v108 offset:8704                         // 000000007C74: D81A2200 00006C14
	ds_write_b32 v20, v112 offset:10880                        // 000000007C7C: D81A2A80 00007014
	ds_write_b32 v20, v116 offset:13056                        // 000000007C84: D81A3300 00007414
	ds_write_b32 v20, v120 offset:15232                        // 000000007C8C: D81A3B80 00007814
	ds_write_b32 v20, v124 offset:17408                        // 000000007C94: D81A4400 00007C14
	ds_write_b32 v20, v128 offset:19584                        // 000000007C9C: D81A4C80 00008014
	ds_write_b32 v20, v132 offset:1088                         // 000000007CA4: D81A0440 00008414
	ds_write_b32 v20, v136 offset:3264                         // 000000007CAC: D81A0CC0 00008814
	ds_write_b32 v20, v140 offset:5440                         // 000000007CB4: D81A1540 00008C14
	ds_write_b32 v20, v144 offset:7616                         // 000000007CBC: D81A1DC0 00009014
	ds_write_b32 v20, v148 offset:9792                         // 000000007CC4: D81A2640 00009414
	ds_write_b32 v20, v152 offset:11968                        // 000000007CCC: D81A2EC0 00009814
	ds_write_b32 v20, v156 offset:14144                        // 000000007CD4: D81A3740 00009C14
	ds_write_b32 v20, v160 offset:16320                        // 000000007CDC: D81A3FC0 0000A014
	ds_write_b32 v20, v164 offset:18496                        // 000000007CE4: D81A4840 0000A414
	ds_write_b32 v20, v168 offset:20672                        // 000000007CEC: D81A50C0 0000A814
	v_lshrrev_b32_e32 v4, 5, v0                                // 000000007CF4: 20080085
	v_xor_b32_e32 v5, 1, v4                                    // 000000007CF8: 2A0A0881
	s_mul_i32 s60, s65, 1                                      // 000000007CFC: 923C8141
	s_cmp_eq_u32 s88, 0                                        // 000000007D00: BF068058
	s_cselect_b32 s61, 1, 8                                    // 000000007D04: 853D8881
	s_mul_i32 s60, s61, s60                                    // 000000007D08: 923C3C3D
	v_readlane_b32 s82, v3, 0                                  // 000000007D0C: D2890052 00010103
	s_lshr_b32 s61, s82, 24                                    // 000000007D14: 8F3D9852
	s_and_b32 s82, s82, 0xffffff                               // 000000007D18: 8652FF52 00FFFFFF
	s_mul_i32 s82, s82, s71                                    // 000000007D20: 92524752
	s_mul_i32 s61, s60, s61                                    // 000000007D24: 923D3D3C
	s_add_u32 s82, s82, s61                                    // 000000007D28: 80523D52
	v_mul_lo_u32 v6, v5, s82                                   // 000000007D2C: D2850006 0000A505
	v_readlane_b32 s82, v3, 1                                  // 000000007D34: D2890052 00010303
	s_lshr_b32 s61, s82, 24                                    // 000000007D3C: 8F3D9852
	s_and_b32 s82, s82, 0xffffff                               // 000000007D40: 8652FF52 00FFFFFF
	s_mul_i32 s82, s82, s71                                    // 000000007D48: 92524752
	s_mul_i32 s61, s60, s61                                    // 000000007D4C: 923D3D3C
	s_add_u32 s82, s82, s61                                    // 000000007D50: 80523D52
	v_mul_lo_u32 v7, v4, s82                                   // 000000007D54: D2850007 0000A504
	v_add_u32_e32 v68, v6, v7                                  // 000000007D5C: 68880F06
	v_readlane_b32 s82, v3, 2                                  // 000000007D60: D2890052 00010503
	s_lshr_b32 s61, s82, 24                                    // 000000007D68: 8F3D9852
	s_and_b32 s82, s82, 0xffffff                               // 000000007D6C: 8652FF52 00FFFFFF
	s_mul_i32 s82, s82, s71                                    // 000000007D74: 92524752
	s_mul_i32 s61, s60, s61                                    // 000000007D78: 923D3D3C
	s_add_u32 s82, s82, s61                                    // 000000007D7C: 80523D52
	v_mul_lo_u32 v6, v5, s82                                   // 000000007D80: D2850006 0000A505
	v_readlane_b32 s82, v3, 3                                  // 000000007D88: D2890052 00010703
	s_lshr_b32 s61, s82, 24                                    // 000000007D90: 8F3D9852
	s_and_b32 s82, s82, 0xffffff                               // 000000007D94: 8652FF52 00FFFFFF
	s_mul_i32 s82, s82, s71                                    // 000000007D9C: 92524752
	s_mul_i32 s61, s60, s61                                    // 000000007DA0: 923D3D3C
	s_add_u32 s82, s82, s61                                    // 000000007DA4: 80523D52
	v_mul_lo_u32 v7, v4, s82                                   // 000000007DA8: D2850007 0000A504
	v_add_u32_e32 v69, v6, v7                                  // 000000007DB0: 688A0F06
	v_readlane_b32 s82, v3, 4                                  // 000000007DB4: D2890052 00010903
	s_lshr_b32 s61, s82, 24                                    // 000000007DBC: 8F3D9852
	s_and_b32 s82, s82, 0xffffff                               // 000000007DC0: 8652FF52 00FFFFFF
	s_mul_i32 s82, s82, s71                                    // 000000007DC8: 92524752
	s_mul_i32 s61, s60, s61                                    // 000000007DCC: 923D3D3C
	s_add_u32 s82, s82, s61                                    // 000000007DD0: 80523D52
	v_mul_lo_u32 v6, v5, s82                                   // 000000007DD4: D2850006 0000A505
	v_readlane_b32 s82, v3, 5                                  // 000000007DDC: D2890052 00010B03
	s_lshr_b32 s61, s82, 24                                    // 000000007DE4: 8F3D9852
	s_and_b32 s82, s82, 0xffffff                               // 000000007DE8: 8652FF52 00FFFFFF
	s_mul_i32 s82, s82, s71                                    // 000000007DF0: 92524752
	s_mul_i32 s61, s60, s61                                    // 000000007DF4: 923D3D3C
	s_add_u32 s82, s82, s61                                    // 000000007DF8: 80523D52
	v_mul_lo_u32 v7, v4, s82                                   // 000000007DFC: D2850007 0000A504
	v_add_u32_e32 v70, v6, v7                                  // 000000007E04: 688C0F06
	v_readlane_b32 s82, v3, 6                                  // 000000007E08: D2890052 00010D03
	s_lshr_b32 s61, s82, 24                                    // 000000007E10: 8F3D9852
	s_and_b32 s82, s82, 0xffffff                               // 000000007E14: 8652FF52 00FFFFFF
	s_mul_i32 s82, s82, s71                                    // 000000007E1C: 92524752
	s_mul_i32 s61, s60, s61                                    // 000000007E20: 923D3D3C
	s_add_u32 s82, s82, s61                                    // 000000007E24: 80523D52
	v_mul_lo_u32 v6, v5, s82                                   // 000000007E28: D2850006 0000A505
	v_readlane_b32 s82, v3, 7                                  // 000000007E30: D2890052 00010F03
	s_lshr_b32 s61, s82, 24                                    // 000000007E38: 8F3D9852
	s_and_b32 s82, s82, 0xffffff                               // 000000007E3C: 8652FF52 00FFFFFF
	s_mul_i32 s82, s82, s71                                    // 000000007E44: 92524752
	s_mul_i32 s61, s60, s61                                    // 000000007E48: 923D3D3C
	s_add_u32 s82, s82, s61                                    // 000000007E4C: 80523D52
	v_mul_lo_u32 v7, v4, s82                                   // 000000007E50: D2850007 0000A504
	v_add_u32_e32 v71, v6, v7                                  // 000000007E58: 688E0F06
	v_readlane_b32 s82, v3, 8                                  // 000000007E5C: D2890052 00011103
	s_lshr_b32 s61, s82, 24                                    // 000000007E64: 8F3D9852
	s_and_b32 s82, s82, 0xffffff                               // 000000007E68: 8652FF52 00FFFFFF
	s_mul_i32 s82, s82, s71                                    // 000000007E70: 92524752
	s_mul_i32 s61, s60, s61                                    // 000000007E74: 923D3D3C
	s_add_u32 s82, s82, s61                                    // 000000007E78: 80523D52
	v_mul_lo_u32 v6, v5, s82                                   // 000000007E7C: D2850006 0000A505
	v_readlane_b32 s82, v3, 9                                  // 000000007E84: D2890052 00011303
	s_lshr_b32 s61, s82, 24                                    // 000000007E8C: 8F3D9852
	s_and_b32 s82, s82, 0xffffff                               // 000000007E90: 8652FF52 00FFFFFF
	s_mul_i32 s82, s82, s71                                    // 000000007E98: 92524752
	s_mul_i32 s61, s60, s61                                    // 000000007E9C: 923D3D3C
	s_add_u32 s82, s82, s61                                    // 000000007EA0: 80523D52
	v_mul_lo_u32 v7, v4, s82                                   // 000000007EA4: D2850007 0000A504
	v_add_u32_e32 v72, v6, v7                                  // 000000007EAC: 68900F06
	v_readlane_b32 s82, v3, 10                                 // 000000007EB0: D2890052 00011503
	s_lshr_b32 s61, s82, 24                                    // 000000007EB8: 8F3D9852
	s_and_b32 s82, s82, 0xffffff                               // 000000007EBC: 8652FF52 00FFFFFF
	s_mul_i32 s82, s82, s71                                    // 000000007EC4: 92524752
	s_mul_i32 s61, s60, s61                                    // 000000007EC8: 923D3D3C
	s_add_u32 s82, s82, s61                                    // 000000007ECC: 80523D52
	v_mul_lo_u32 v6, v5, s82                                   // 000000007ED0: D2850006 0000A505
	v_readlane_b32 s82, v3, 11                                 // 000000007ED8: D2890052 00011703
	s_lshr_b32 s61, s82, 24                                    // 000000007EE0: 8F3D9852
	s_and_b32 s82, s82, 0xffffff                               // 000000007EE4: 8652FF52 00FFFFFF
	s_mul_i32 s82, s82, s71                                    // 000000007EEC: 92524752
	s_mul_i32 s61, s60, s61                                    // 000000007EF0: 923D3D3C
	s_add_u32 s82, s82, s61                                    // 000000007EF4: 80523D52
	v_mul_lo_u32 v7, v4, s82                                   // 000000007EF8: D2850007 0000A504
	v_add_u32_e32 v73, v6, v7                                  // 000000007F00: 68920F06
	v_readlane_b32 s82, v3, 12                                 // 000000007F04: D2890052 00011903
	s_lshr_b32 s61, s82, 24                                    // 000000007F0C: 8F3D9852
	s_and_b32 s82, s82, 0xffffff                               // 000000007F10: 8652FF52 00FFFFFF
	s_mul_i32 s82, s82, s71                                    // 000000007F18: 92524752
	s_mul_i32 s61, s60, s61                                    // 000000007F1C: 923D3D3C
	s_add_u32 s82, s82, s61                                    // 000000007F20: 80523D52
	v_mul_lo_u32 v6, v5, s82                                   // 000000007F24: D2850006 0000A505
	v_readlane_b32 s82, v3, 13                                 // 000000007F2C: D2890052 00011B03
	s_lshr_b32 s61, s82, 24                                    // 000000007F34: 8F3D9852
	s_and_b32 s82, s82, 0xffffff                               // 000000007F38: 8652FF52 00FFFFFF
	s_mul_i32 s82, s82, s71                                    // 000000007F40: 92524752
	s_mul_i32 s61, s60, s61                                    // 000000007F44: 923D3D3C
	s_add_u32 s82, s82, s61                                    // 000000007F48: 80523D52
	v_mul_lo_u32 v7, v4, s82                                   // 000000007F4C: D2850007 0000A504
	v_add_u32_e32 v74, v6, v7                                  // 000000007F54: 68940F06
	v_readlane_b32 s82, v3, 14                                 // 000000007F58: D2890052 00011D03
	s_lshr_b32 s61, s82, 24                                    // 000000007F60: 8F3D9852
	s_and_b32 s82, s82, 0xffffff                               // 000000007F64: 8652FF52 00FFFFFF
	s_mul_i32 s82, s82, s71                                    // 000000007F6C: 92524752
	s_mul_i32 s61, s60, s61                                    // 000000007F70: 923D3D3C
	s_add_u32 s82, s82, s61                                    // 000000007F74: 80523D52
	v_mul_lo_u32 v6, v5, s82                                   // 000000007F78: D2850006 0000A505
	v_readlane_b32 s82, v3, 15                                 // 000000007F80: D2890052 00011F03
	s_lshr_b32 s61, s82, 24                                    // 000000007F88: 8F3D9852
	s_and_b32 s82, s82, 0xffffff                               // 000000007F8C: 8652FF52 00FFFFFF
	s_mul_i32 s82, s82, s71                                    // 000000007F94: 92524752
	s_mul_i32 s61, s60, s61                                    // 000000007F98: 923D3D3C
	s_add_u32 s82, s82, s61                                    // 000000007F9C: 80523D52
	v_mul_lo_u32 v7, v4, s82                                   // 000000007FA0: D2850007 0000A504
	v_add_u32_e32 v75, v6, v7                                  // 000000007FA8: 68960F06
	v_readlane_b32 s82, v3, 16                                 // 000000007FAC: D2890052 00012103
	s_lshr_b32 s61, s82, 24                                    // 000000007FB4: 8F3D9852
	s_and_b32 s82, s82, 0xffffff                               // 000000007FB8: 8652FF52 00FFFFFF
	s_mul_i32 s82, s82, s71                                    // 000000007FC0: 92524752
	s_mul_i32 s61, s60, s61                                    // 000000007FC4: 923D3D3C
	s_add_u32 s82, s82, s61                                    // 000000007FC8: 80523D52
	v_mul_lo_u32 v6, v5, s82                                   // 000000007FCC: D2850006 0000A505
	v_readlane_b32 s82, v3, 17                                 // 000000007FD4: D2890052 00012303
	s_lshr_b32 s61, s82, 24                                    // 000000007FDC: 8F3D9852
	s_and_b32 s82, s82, 0xffffff                               // 000000007FE0: 8652FF52 00FFFFFF
	s_mul_i32 s82, s82, s71                                    // 000000007FE8: 92524752
	s_mul_i32 s61, s60, s61                                    // 000000007FEC: 923D3D3C
	s_add_u32 s82, s82, s61                                    // 000000007FF0: 80523D52
	v_mul_lo_u32 v7, v4, s82                                   // 000000007FF4: D2850007 0000A504
	v_add_u32_e32 v76, v6, v7                                  // 000000007FFC: 68980F06
	v_readlane_b32 s82, v3, 18                                 // 000000008000: D2890052 00012503
	s_lshr_b32 s61, s82, 24                                    // 000000008008: 8F3D9852
	s_and_b32 s82, s82, 0xffffff                               // 00000000800C: 8652FF52 00FFFFFF
	s_mul_i32 s82, s82, s71                                    // 000000008014: 92524752
	s_mul_i32 s61, s60, s61                                    // 000000008018: 923D3D3C
	s_add_u32 s82, s82, s61                                    // 00000000801C: 80523D52
	v_mul_lo_u32 v6, v5, s82                                   // 000000008020: D2850006 0000A505
	v_readlane_b32 s82, v3, 19                                 // 000000008028: D2890052 00012703
	s_lshr_b32 s61, s82, 24                                    // 000000008030: 8F3D9852
	s_and_b32 s82, s82, 0xffffff                               // 000000008034: 8652FF52 00FFFFFF
	s_mul_i32 s82, s82, s71                                    // 00000000803C: 92524752
	s_mul_i32 s61, s60, s61                                    // 000000008040: 923D3D3C
	s_add_u32 s82, s82, s61                                    // 000000008044: 80523D52
	v_mul_lo_u32 v7, v4, s82                                   // 000000008048: D2850007 0000A504
	v_add_u32_e32 v77, v6, v7                                  // 000000008050: 689A0F06
	v_readlane_b32 s82, v3, 20                                 // 000000008054: D2890052 00012903
	s_lshr_b32 s61, s82, 24                                    // 00000000805C: 8F3D9852
	s_and_b32 s82, s82, 0xffffff                               // 000000008060: 8652FF52 00FFFFFF
	s_mul_i32 s82, s82, s71                                    // 000000008068: 92524752
	s_mul_i32 s61, s60, s61                                    // 00000000806C: 923D3D3C
	s_add_u32 s82, s82, s61                                    // 000000008070: 80523D52
	v_mul_lo_u32 v6, v5, s82                                   // 000000008074: D2850006 0000A505
	v_readlane_b32 s82, v3, 21                                 // 00000000807C: D2890052 00012B03
	s_lshr_b32 s61, s82, 24                                    // 000000008084: 8F3D9852
	s_and_b32 s82, s82, 0xffffff                               // 000000008088: 8652FF52 00FFFFFF
	s_mul_i32 s82, s82, s71                                    // 000000008090: 92524752
	s_mul_i32 s61, s60, s61                                    // 000000008094: 923D3D3C
	s_add_u32 s82, s82, s61                                    // 000000008098: 80523D52
	v_mul_lo_u32 v7, v4, s82                                   // 00000000809C: D2850007 0000A504
	v_add_u32_e32 v78, v6, v7                                  // 0000000080A4: 689C0F06
	v_readlane_b32 s82, v3, 22                                 // 0000000080A8: D2890052 00012D03
	s_lshr_b32 s61, s82, 24                                    // 0000000080B0: 8F3D9852
	s_and_b32 s82, s82, 0xffffff                               // 0000000080B4: 8652FF52 00FFFFFF
	s_mul_i32 s82, s82, s71                                    // 0000000080BC: 92524752
	s_mul_i32 s61, s60, s61                                    // 0000000080C0: 923D3D3C
	s_add_u32 s82, s82, s61                                    // 0000000080C4: 80523D52
	v_mul_lo_u32 v6, v5, s82                                   // 0000000080C8: D2850006 0000A505
	v_readlane_b32 s82, v3, 23                                 // 0000000080D0: D2890052 00012F03
	s_lshr_b32 s61, s82, 24                                    // 0000000080D8: 8F3D9852
	s_and_b32 s82, s82, 0xffffff                               // 0000000080DC: 8652FF52 00FFFFFF
	s_mul_i32 s82, s82, s71                                    // 0000000080E4: 92524752
	s_mul_i32 s61, s60, s61                                    // 0000000080E8: 923D3D3C
	s_add_u32 s82, s82, s61                                    // 0000000080EC: 80523D52
	v_mul_lo_u32 v7, v4, s82                                   // 0000000080F0: D2850007 0000A504
	v_add_u32_e32 v79, v6, v7                                  // 0000000080F8: 689E0F06
	v_readlane_b32 s82, v3, 24                                 // 0000000080FC: D2890052 00013103
	s_lshr_b32 s61, s82, 24                                    // 000000008104: 8F3D9852
	s_and_b32 s82, s82, 0xffffff                               // 000000008108: 8652FF52 00FFFFFF
	s_mul_i32 s82, s82, s71                                    // 000000008110: 92524752
	s_mul_i32 s61, s60, s61                                    // 000000008114: 923D3D3C
	s_add_u32 s82, s82, s61                                    // 000000008118: 80523D52
	v_mul_lo_u32 v6, v5, s82                                   // 00000000811C: D2850006 0000A505
	v_readlane_b32 s82, v3, 25                                 // 000000008124: D2890052 00013303
	s_lshr_b32 s61, s82, 24                                    // 00000000812C: 8F3D9852
	s_and_b32 s82, s82, 0xffffff                               // 000000008130: 8652FF52 00FFFFFF
	s_mul_i32 s82, s82, s71                                    // 000000008138: 92524752
	s_mul_i32 s61, s60, s61                                    // 00000000813C: 923D3D3C
	s_add_u32 s82, s82, s61                                    // 000000008140: 80523D52
	v_mul_lo_u32 v7, v4, s82                                   // 000000008144: D2850007 0000A504
	v_add_u32_e32 v80, v6, v7                                  // 00000000814C: 68A00F06
	v_readlane_b32 s82, v3, 26                                 // 000000008150: D2890052 00013503
	s_lshr_b32 s61, s82, 24                                    // 000000008158: 8F3D9852
	s_and_b32 s82, s82, 0xffffff                               // 00000000815C: 8652FF52 00FFFFFF
	s_mul_i32 s82, s82, s71                                    // 000000008164: 92524752
	s_mul_i32 s61, s60, s61                                    // 000000008168: 923D3D3C
	s_add_u32 s82, s82, s61                                    // 00000000816C: 80523D52
	v_mul_lo_u32 v6, v5, s82                                   // 000000008170: D2850006 0000A505
	v_readlane_b32 s82, v3, 27                                 // 000000008178: D2890052 00013703
	s_lshr_b32 s61, s82, 24                                    // 000000008180: 8F3D9852
	s_and_b32 s82, s82, 0xffffff                               // 000000008184: 8652FF52 00FFFFFF
	s_mul_i32 s82, s82, s71                                    // 00000000818C: 92524752
	s_mul_i32 s61, s60, s61                                    // 000000008190: 923D3D3C
	s_add_u32 s82, s82, s61                                    // 000000008194: 80523D52
	v_mul_lo_u32 v7, v4, s82                                   // 000000008198: D2850007 0000A504
	v_add_u32_e32 v81, v6, v7                                  // 0000000081A0: 68A20F06
	v_readlane_b32 s82, v3, 28                                 // 0000000081A4: D2890052 00013903
	s_lshr_b32 s61, s82, 24                                    // 0000000081AC: 8F3D9852
	s_and_b32 s82, s82, 0xffffff                               // 0000000081B0: 8652FF52 00FFFFFF
	s_mul_i32 s82, s82, s71                                    // 0000000081B8: 92524752
	s_mul_i32 s61, s60, s61                                    // 0000000081BC: 923D3D3C
	s_add_u32 s82, s82, s61                                    // 0000000081C0: 80523D52
	v_mul_lo_u32 v6, v5, s82                                   // 0000000081C4: D2850006 0000A505
	v_readlane_b32 s82, v3, 29                                 // 0000000081CC: D2890052 00013B03
	s_lshr_b32 s61, s82, 24                                    // 0000000081D4: 8F3D9852
	s_and_b32 s82, s82, 0xffffff                               // 0000000081D8: 8652FF52 00FFFFFF
	s_mul_i32 s82, s82, s71                                    // 0000000081E0: 92524752
	s_mul_i32 s61, s60, s61                                    // 0000000081E4: 923D3D3C
	s_add_u32 s82, s82, s61                                    // 0000000081E8: 80523D52
	v_mul_lo_u32 v7, v4, s82                                   // 0000000081EC: D2850007 0000A504
	v_add_u32_e32 v82, v6, v7                                  // 0000000081F4: 68A40F06
	v_readlane_b32 s82, v3, 30                                 // 0000000081F8: D2890052 00013D03
	s_lshr_b32 s61, s82, 24                                    // 000000008200: 8F3D9852
	s_and_b32 s82, s82, 0xffffff                               // 000000008204: 8652FF52 00FFFFFF
	s_mul_i32 s82, s82, s71                                    // 00000000820C: 92524752
	s_mul_i32 s61, s60, s61                                    // 000000008210: 923D3D3C
	s_add_u32 s82, s82, s61                                    // 000000008214: 80523D52
	v_mul_lo_u32 v6, v5, s82                                   // 000000008218: D2850006 0000A505
	v_readlane_b32 s82, v3, 31                                 // 000000008220: D2890052 00013F03
	s_lshr_b32 s61, s82, 24                                    // 000000008228: 8F3D9852
	s_and_b32 s82, s82, 0xffffff                               // 00000000822C: 8652FF52 00FFFFFF
	s_mul_i32 s82, s82, s71                                    // 000000008234: 92524752
	s_mul_i32 s61, s60, s61                                    // 000000008238: 923D3D3C
	s_add_u32 s82, s82, s61                                    // 00000000823C: 80523D52
	v_mul_lo_u32 v7, v4, s82                                   // 000000008240: D2850007 0000A504
	v_add_u32_e32 v83, v6, v7                                  // 000000008248: 68A60F06
	v_readlane_b32 s82, v3, 32                                 // 00000000824C: D2890052 00014103
	s_lshr_b32 s61, s82, 24                                    // 000000008254: 8F3D9852
	s_and_b32 s82, s82, 0xffffff                               // 000000008258: 8652FF52 00FFFFFF
	s_mul_i32 s82, s82, s71                                    // 000000008260: 92524752
	s_mul_i32 s61, s60, s61                                    // 000000008264: 923D3D3C
	s_add_u32 s82, s82, s61                                    // 000000008268: 80523D52
	v_mul_lo_u32 v6, v5, s82                                   // 00000000826C: D2850006 0000A505
	v_readlane_b32 s82, v3, 33                                 // 000000008274: D2890052 00014303
	s_lshr_b32 s61, s82, 24                                    // 00000000827C: 8F3D9852
	s_and_b32 s82, s82, 0xffffff                               // 000000008280: 8652FF52 00FFFFFF
	s_mul_i32 s82, s82, s71                                    // 000000008288: 92524752
	s_mul_i32 s61, s60, s61                                    // 00000000828C: 923D3D3C
	s_add_u32 s82, s82, s61                                    // 000000008290: 80523D52
	v_mul_lo_u32 v7, v4, s82                                   // 000000008294: D2850007 0000A504
	v_add_u32_e32 v84, v6, v7                                  // 00000000829C: 68A80F06
	v_readlane_b32 s82, v3, 34                                 // 0000000082A0: D2890052 00014503
	s_lshr_b32 s61, s82, 24                                    // 0000000082A8: 8F3D9852
	s_and_b32 s82, s82, 0xffffff                               // 0000000082AC: 8652FF52 00FFFFFF
	s_mul_i32 s82, s82, s71                                    // 0000000082B4: 92524752
	s_mul_i32 s61, s60, s61                                    // 0000000082B8: 923D3D3C
	s_add_u32 s82, s82, s61                                    // 0000000082BC: 80523D52
	v_mul_lo_u32 v6, v5, s82                                   // 0000000082C0: D2850006 0000A505
	v_readlane_b32 s82, v3, 35                                 // 0000000082C8: D2890052 00014703
	s_lshr_b32 s61, s82, 24                                    // 0000000082D0: 8F3D9852
	s_and_b32 s82, s82, 0xffffff                               // 0000000082D4: 8652FF52 00FFFFFF
	s_mul_i32 s82, s82, s71                                    // 0000000082DC: 92524752
	s_mul_i32 s61, s60, s61                                    // 0000000082E0: 923D3D3C
	s_add_u32 s82, s82, s61                                    // 0000000082E4: 80523D52
	v_mul_lo_u32 v7, v4, s82                                   // 0000000082E8: D2850007 0000A504
	v_add_u32_e32 v85, v6, v7                                  // 0000000082F0: 68AA0F06
	v_readlane_b32 s82, v3, 36                                 // 0000000082F4: D2890052 00014903
	s_lshr_b32 s61, s82, 24                                    // 0000000082FC: 8F3D9852
	s_and_b32 s82, s82, 0xffffff                               // 000000008300: 8652FF52 00FFFFFF
	s_mul_i32 s82, s82, s71                                    // 000000008308: 92524752
	s_mul_i32 s61, s60, s61                                    // 00000000830C: 923D3D3C
	s_add_u32 s82, s82, s61                                    // 000000008310: 80523D52
	v_mul_lo_u32 v6, v5, s82                                   // 000000008314: D2850006 0000A505
	v_readlane_b32 s82, v3, 37                                 // 00000000831C: D2890052 00014B03
	s_lshr_b32 s61, s82, 24                                    // 000000008324: 8F3D9852
	s_and_b32 s82, s82, 0xffffff                               // 000000008328: 8652FF52 00FFFFFF
	s_mul_i32 s82, s82, s71                                    // 000000008330: 92524752
	s_mul_i32 s61, s60, s61                                    // 000000008334: 923D3D3C
	s_add_u32 s82, s82, s61                                    // 000000008338: 80523D52
	v_mul_lo_u32 v7, v4, s82                                   // 00000000833C: D2850007 0000A504
	v_add_u32_e32 v86, v6, v7                                  // 000000008344: 68AC0F06
	v_readlane_b32 s82, v3, 38                                 // 000000008348: D2890052 00014D03
	s_lshr_b32 s61, s82, 24                                    // 000000008350: 8F3D9852
	s_and_b32 s82, s82, 0xffffff                               // 000000008354: 8652FF52 00FFFFFF
	s_mul_i32 s82, s82, s71                                    // 00000000835C: 92524752
	s_mul_i32 s61, s60, s61                                    // 000000008360: 923D3D3C
	s_add_u32 s82, s82, s61                                    // 000000008364: 80523D52
	v_mul_lo_u32 v6, v5, s82                                   // 000000008368: D2850006 0000A505
	v_readlane_b32 s82, v3, 39                                 // 000000008370: D2890052 00014F03
	s_lshr_b32 s61, s82, 24                                    // 000000008378: 8F3D9852
	s_and_b32 s82, s82, 0xffffff                               // 00000000837C: 8652FF52 00FFFFFF
	s_mul_i32 s82, s82, s71                                    // 000000008384: 92524752
	s_mul_i32 s61, s60, s61                                    // 000000008388: 923D3D3C
	s_add_u32 s82, s82, s61                                    // 00000000838C: 80523D52
	v_mul_lo_u32 v7, v4, s82                                   // 000000008390: D2850007 0000A504
	v_add_u32_e32 v87, v6, v7                                  // 000000008398: 68AE0F06
	v_and_b32_e32 v4, 31, v0                                   // 00000000839C: 2608009F
	v_lshrrev_b32_e32 v4, 1, v4                                // 0000000083A0: 20080881
	s_cmp_eq_u32 s88, 0                                        // 0000000083A4: BF068058
	s_cselect_b32 s61, 2, 4                                    // 0000000083A8: 853D8482
	v_mul_lo_u32 v4, v4, s61                                   // 0000000083AC: D2850004 00007B04
	v_and_b32_e64 v5, v0, 1                                    // 0000000083B4: D1130005 00010300
	v_add_u32_e32 v4, v4, v5                                   // 0000000083BC: 68080B04
	v_lshlrev_b32_e32 v4, 2, v4                                // 0000000083C0: 24080882
	v_add_u32_e32 v68, v68, v4                                 // 0000000083C4: 68880944
	v_add_u32_e32 v69, v69, v4                                 // 0000000083C8: 688A0945
	v_add_u32_e32 v70, v70, v4                                 // 0000000083CC: 688C0946
	v_add_u32_e32 v71, v71, v4                                 // 0000000083D0: 688E0947
	v_add_u32_e32 v72, v72, v4                                 // 0000000083D4: 68900948
	v_add_u32_e32 v73, v73, v4                                 // 0000000083D8: 68920949
	v_add_u32_e32 v74, v74, v4                                 // 0000000083DC: 6894094A
	v_add_u32_e32 v75, v75, v4                                 // 0000000083E0: 6896094B
	v_add_u32_e32 v76, v76, v4                                 // 0000000083E4: 6898094C
	v_add_u32_e32 v77, v77, v4                                 // 0000000083E8: 689A094D
	v_add_u32_e32 v78, v78, v4                                 // 0000000083EC: 689C094E
	v_add_u32_e32 v79, v79, v4                                 // 0000000083F0: 689E094F
	v_add_u32_e32 v80, v80, v4                                 // 0000000083F4: 68A00950
	v_add_u32_e32 v81, v81, v4                                 // 0000000083F8: 68A20951
	v_add_u32_e32 v82, v82, v4                                 // 0000000083FC: 68A40952
	v_add_u32_e32 v83, v83, v4                                 // 000000008400: 68A60953
	v_add_u32_e32 v84, v84, v4                                 // 000000008404: 68A80954
	v_add_u32_e32 v85, v85, v4                                 // 000000008408: 68AA0955
	v_add_u32_e32 v86, v86, v4                                 // 00000000840C: 68AC0956
	v_add_u32_e32 v87, v87, v4                                 // 000000008410: 68AE0957
	s_waitcnt lgkmcnt(0)                                       // 000000008414: BF8CC07F
	s_barrier                                                  // 000000008418: BF8A0000
	ds_read_b32 v92, v21                                       // 00000000841C: D86C0000 5C000015
	ds_read_b32 v93, v21 offset:64                             // 000000008424: D86C0040 5D000015
	ds_read_b32 v94, v21 offset:2176                           // 00000000842C: D86C0880 5E000015
	ds_read_b32 v95, v21 offset:2240                           // 000000008434: D86C08C0 5F000015
	ds_read_b32 v96, v21 offset:4352                           // 00000000843C: D86C1100 60000015
	ds_read_b32 v97, v21 offset:4416                           // 000000008444: D86C1140 61000015
	ds_read_b32 v98, v21 offset:6528                           // 00000000844C: D86C1980 62000015
	ds_read_b32 v99, v21 offset:6592                           // 000000008454: D86C19C0 63000015
	ds_read_b32 v100, v21 offset:8704                          // 00000000845C: D86C2200 64000015
	ds_read_b32 v101, v21 offset:8768                          // 000000008464: D86C2240 65000015
	ds_read_b32 v102, v21 offset:10880                         // 00000000846C: D86C2A80 66000015
	ds_read_b32 v103, v21 offset:10944                         // 000000008474: D86C2AC0 67000015
	ds_read_b32 v104, v21 offset:13056                         // 00000000847C: D86C3300 68000015
	ds_read_b32 v105, v21 offset:13120                         // 000000008484: D86C3340 69000015
	ds_read_b32 v106, v21 offset:15232                         // 00000000848C: D86C3B80 6A000015
	ds_read_b32 v107, v21 offset:15296                         // 000000008494: D86C3BC0 6B000015
	ds_read_b32 v108, v21 offset:17408                         // 00000000849C: D86C4400 6C000015
	ds_read_b32 v109, v21 offset:17472                         // 0000000084A4: D86C4440 6D000015
	ds_read_b32 v110, v21 offset:19584                         // 0000000084AC: D86C4C80 6E000015
	ds_read_b32 v111, v21 offset:19648                         // 0000000084B4: D86C4CC0 6F000015
	s_waitcnt lgkmcnt(0)                                       // 0000000084BC: BF8CC07F
	s_mov_b32 s36, -1                                          // 0000000084C0: BEA400C1
	s_mov_b32 s37, -1                                          // 0000000084C4: BEA500C1
	v_mov_b32_e32 v7, 0                                        // 0000000084C8: 7E0E0280
	s_or_b32 s9, s9, 0x40000                                   // 0000000084CC: 8709FF09 00040000
	s_mov_b64 exec, s[36:37]                                   // 0000000084D4: BEFE0124
	v_mov_b32_e32 v6, v68                                      // 0000000084D8: 7E0C0344
	s_mov_b64 s[60:61], 0                                      // 0000000084DC: BEBC0180
	v_readlane_b32 s82, v3, 0                                  // 0000000084E0: D2890052 00010103
	s_and_b32 s82, s82, 0xffffff                               // 0000000084E8: 8652FF52 00FFFFFF
	s_cmp_lt_u32 s82, s66                                      // 0000000084F0: BF0A4252
	s_cselect_b32 s20, s36, s60                                // 0000000084F4: 85143C24
	v_readlane_b32 s82, v3, 1                                  // 0000000084F8: D2890052 00010303
	s_and_b32 s82, s82, 0xffffff                               // 000000008500: 8652FF52 00FFFFFF
	s_cmp_lt_u32 s82, s66                                      // 000000008508: BF0A4252
	s_cselect_b32 s21, s36, s60                                // 00000000850C: 85153C24
	s_mov_b64 exec, s[20:21]                                   // 000000008510: BEFE0114
	buffer_store_dword v92, v6, s[8:11], 0 offen               // 000000008514: E0701000 80025C06
	s_mov_b64 exec, s[36:37]                                   // 00000000851C: BEFE0124
	v_mov_b32_e32 v6, v69                                      // 000000008520: 7E0C0345
	s_mov_b64 s[60:61], 0                                      // 000000008524: BEBC0180
	v_readlane_b32 s82, v3, 2                                  // 000000008528: D2890052 00010503
	s_and_b32 s82, s82, 0xffffff                               // 000000008530: 8652FF52 00FFFFFF
	s_cmp_lt_u32 s82, s66                                      // 000000008538: BF0A4252
	s_cselect_b32 s20, s36, s60                                // 00000000853C: 85143C24
	v_readlane_b32 s82, v3, 3                                  // 000000008540: D2890052 00010703
	s_and_b32 s82, s82, 0xffffff                               // 000000008548: 8652FF52 00FFFFFF
	s_cmp_lt_u32 s82, s66                                      // 000000008550: BF0A4252
	s_cselect_b32 s21, s36, s60                                // 000000008554: 85153C24
	s_mov_b64 exec, s[20:21]                                   // 000000008558: BEFE0114
	buffer_store_dword v93, v6, s[8:11], 0 offen               // 00000000855C: E0701000 80025D06
	s_mov_b64 exec, s[36:37]                                   // 000000008564: BEFE0124
	v_mov_b32_e32 v6, v70                                      // 000000008568: 7E0C0346
	s_mov_b64 s[60:61], 0                                      // 00000000856C: BEBC0180
	v_readlane_b32 s82, v3, 4                                  // 000000008570: D2890052 00010903
	s_and_b32 s82, s82, 0xffffff                               // 000000008578: 8652FF52 00FFFFFF
	s_cmp_lt_u32 s82, s66                                      // 000000008580: BF0A4252
	s_cselect_b32 s20, s36, s60                                // 000000008584: 85143C24
	v_readlane_b32 s82, v3, 5                                  // 000000008588: D2890052 00010B03
	s_and_b32 s82, s82, 0xffffff                               // 000000008590: 8652FF52 00FFFFFF
	s_cmp_lt_u32 s82, s66                                      // 000000008598: BF0A4252
	s_cselect_b32 s21, s36, s60                                // 00000000859C: 85153C24
	s_mov_b64 exec, s[20:21]                                   // 0000000085A0: BEFE0114
	buffer_store_dword v94, v6, s[8:11], 0 offen               // 0000000085A4: E0701000 80025E06
	s_mov_b64 exec, s[36:37]                                   // 0000000085AC: BEFE0124
	v_mov_b32_e32 v6, v71                                      // 0000000085B0: 7E0C0347
	s_mov_b64 s[60:61], 0                                      // 0000000085B4: BEBC0180
	v_readlane_b32 s82, v3, 6                                  // 0000000085B8: D2890052 00010D03
	s_and_b32 s82, s82, 0xffffff                               // 0000000085C0: 8652FF52 00FFFFFF
	s_cmp_lt_u32 s82, s66                                      // 0000000085C8: BF0A4252
	s_cselect_b32 s20, s36, s60                                // 0000000085CC: 85143C24
	v_readlane_b32 s82, v3, 7                                  // 0000000085D0: D2890052 00010F03
	s_and_b32 s82, s82, 0xffffff                               // 0000000085D8: 8652FF52 00FFFFFF
	s_cmp_lt_u32 s82, s66                                      // 0000000085E0: BF0A4252
	s_cselect_b32 s21, s36, s60                                // 0000000085E4: 85153C24
	s_mov_b64 exec, s[20:21]                                   // 0000000085E8: BEFE0114
	buffer_store_dword v95, v6, s[8:11], 0 offen               // 0000000085EC: E0701000 80025F06
	s_mov_b64 exec, s[36:37]                                   // 0000000085F4: BEFE0124
	v_mov_b32_e32 v6, v72                                      // 0000000085F8: 7E0C0348
	s_mov_b64 s[60:61], 0                                      // 0000000085FC: BEBC0180
	v_readlane_b32 s82, v3, 8                                  // 000000008600: D2890052 00011103
	s_and_b32 s82, s82, 0xffffff                               // 000000008608: 8652FF52 00FFFFFF
	s_cmp_lt_u32 s82, s66                                      // 000000008610: BF0A4252
	s_cselect_b32 s20, s36, s60                                // 000000008614: 85143C24
	v_readlane_b32 s82, v3, 9                                  // 000000008618: D2890052 00011303
	s_and_b32 s82, s82, 0xffffff                               // 000000008620: 8652FF52 00FFFFFF
	s_cmp_lt_u32 s82, s66                                      // 000000008628: BF0A4252
	s_cselect_b32 s21, s36, s60                                // 00000000862C: 85153C24
	s_mov_b64 exec, s[20:21]                                   // 000000008630: BEFE0114
	buffer_store_dword v96, v6, s[8:11], 0 offen               // 000000008634: E0701000 80026006
	s_mov_b64 exec, s[36:37]                                   // 00000000863C: BEFE0124
	v_mov_b32_e32 v6, v73                                      // 000000008640: 7E0C0349
	s_mov_b64 s[60:61], 0                                      // 000000008644: BEBC0180
	v_readlane_b32 s82, v3, 10                                 // 000000008648: D2890052 00011503
	s_and_b32 s82, s82, 0xffffff                               // 000000008650: 8652FF52 00FFFFFF
	s_cmp_lt_u32 s82, s66                                      // 000000008658: BF0A4252
	s_cselect_b32 s20, s36, s60                                // 00000000865C: 85143C24
	v_readlane_b32 s82, v3, 11                                 // 000000008660: D2890052 00011703
	s_and_b32 s82, s82, 0xffffff                               // 000000008668: 8652FF52 00FFFFFF
	s_cmp_lt_u32 s82, s66                                      // 000000008670: BF0A4252
	s_cselect_b32 s21, s36, s60                                // 000000008674: 85153C24
	s_mov_b64 exec, s[20:21]                                   // 000000008678: BEFE0114
	buffer_store_dword v97, v6, s[8:11], 0 offen               // 00000000867C: E0701000 80026106
	s_mov_b64 exec, s[36:37]                                   // 000000008684: BEFE0124
	v_mov_b32_e32 v6, v74                                      // 000000008688: 7E0C034A
	s_mov_b64 s[60:61], 0                                      // 00000000868C: BEBC0180
	v_readlane_b32 s82, v3, 12                                 // 000000008690: D2890052 00011903
	s_and_b32 s82, s82, 0xffffff                               // 000000008698: 8652FF52 00FFFFFF
	s_cmp_lt_u32 s82, s66                                      // 0000000086A0: BF0A4252
	s_cselect_b32 s20, s36, s60                                // 0000000086A4: 85143C24
	v_readlane_b32 s82, v3, 13                                 // 0000000086A8: D2890052 00011B03
	s_and_b32 s82, s82, 0xffffff                               // 0000000086B0: 8652FF52 00FFFFFF
	s_cmp_lt_u32 s82, s66                                      // 0000000086B8: BF0A4252
	s_cselect_b32 s21, s36, s60                                // 0000000086BC: 85153C24
	s_mov_b64 exec, s[20:21]                                   // 0000000086C0: BEFE0114
	buffer_store_dword v98, v6, s[8:11], 0 offen               // 0000000086C4: E0701000 80026206
	s_mov_b64 exec, s[36:37]                                   // 0000000086CC: BEFE0124
	v_mov_b32_e32 v6, v75                                      // 0000000086D0: 7E0C034B
	s_mov_b64 s[60:61], 0                                      // 0000000086D4: BEBC0180
	v_readlane_b32 s82, v3, 14                                 // 0000000086D8: D2890052 00011D03
	s_and_b32 s82, s82, 0xffffff                               // 0000000086E0: 8652FF52 00FFFFFF
	s_cmp_lt_u32 s82, s66                                      // 0000000086E8: BF0A4252
	s_cselect_b32 s20, s36, s60                                // 0000000086EC: 85143C24
	v_readlane_b32 s82, v3, 15                                 // 0000000086F0: D2890052 00011F03
	s_and_b32 s82, s82, 0xffffff                               // 0000000086F8: 8652FF52 00FFFFFF
	s_cmp_lt_u32 s82, s66                                      // 000000008700: BF0A4252
	s_cselect_b32 s21, s36, s60                                // 000000008704: 85153C24
	s_mov_b64 exec, s[20:21]                                   // 000000008708: BEFE0114
	buffer_store_dword v99, v6, s[8:11], 0 offen               // 00000000870C: E0701000 80026306
	s_mov_b64 exec, s[36:37]                                   // 000000008714: BEFE0124
	v_mov_b32_e32 v6, v76                                      // 000000008718: 7E0C034C
	s_mov_b64 s[60:61], 0                                      // 00000000871C: BEBC0180
	v_readlane_b32 s82, v3, 16                                 // 000000008720: D2890052 00012103
	s_and_b32 s82, s82, 0xffffff                               // 000000008728: 8652FF52 00FFFFFF
	s_cmp_lt_u32 s82, s66                                      // 000000008730: BF0A4252
	s_cselect_b32 s20, s36, s60                                // 000000008734: 85143C24
	v_readlane_b32 s82, v3, 17                                 // 000000008738: D2890052 00012303
	s_and_b32 s82, s82, 0xffffff                               // 000000008740: 8652FF52 00FFFFFF
	s_cmp_lt_u32 s82, s66                                      // 000000008748: BF0A4252
	s_cselect_b32 s21, s36, s60                                // 00000000874C: 85153C24
	s_mov_b64 exec, s[20:21]                                   // 000000008750: BEFE0114
	buffer_store_dword v100, v6, s[8:11], 0 offen              // 000000008754: E0701000 80026406
	s_mov_b64 exec, s[36:37]                                   // 00000000875C: BEFE0124
	v_mov_b32_e32 v6, v77                                      // 000000008760: 7E0C034D
	s_mov_b64 s[60:61], 0                                      // 000000008764: BEBC0180
	v_readlane_b32 s82, v3, 18                                 // 000000008768: D2890052 00012503
	s_and_b32 s82, s82, 0xffffff                               // 000000008770: 8652FF52 00FFFFFF
	s_cmp_lt_u32 s82, s66                                      // 000000008778: BF0A4252
	s_cselect_b32 s20, s36, s60                                // 00000000877C: 85143C24
	v_readlane_b32 s82, v3, 19                                 // 000000008780: D2890052 00012703
	s_and_b32 s82, s82, 0xffffff                               // 000000008788: 8652FF52 00FFFFFF
	s_cmp_lt_u32 s82, s66                                      // 000000008790: BF0A4252
	s_cselect_b32 s21, s36, s60                                // 000000008794: 85153C24
	s_mov_b64 exec, s[20:21]                                   // 000000008798: BEFE0114
	buffer_store_dword v101, v6, s[8:11], 0 offen              // 00000000879C: E0701000 80026506
	s_mov_b64 exec, s[36:37]                                   // 0000000087A4: BEFE0124
	v_mov_b32_e32 v6, v78                                      // 0000000087A8: 7E0C034E
	s_mov_b64 s[60:61], 0                                      // 0000000087AC: BEBC0180
	v_readlane_b32 s82, v3, 20                                 // 0000000087B0: D2890052 00012903
	s_and_b32 s82, s82, 0xffffff                               // 0000000087B8: 8652FF52 00FFFFFF
	s_cmp_lt_u32 s82, s66                                      // 0000000087C0: BF0A4252
	s_cselect_b32 s20, s36, s60                                // 0000000087C4: 85143C24
	v_readlane_b32 s82, v3, 21                                 // 0000000087C8: D2890052 00012B03
	s_and_b32 s82, s82, 0xffffff                               // 0000000087D0: 8652FF52 00FFFFFF
	s_cmp_lt_u32 s82, s66                                      // 0000000087D8: BF0A4252
	s_cselect_b32 s21, s36, s60                                // 0000000087DC: 85153C24
	s_mov_b64 exec, s[20:21]                                   // 0000000087E0: BEFE0114
	buffer_store_dword v102, v6, s[8:11], 0 offen              // 0000000087E4: E0701000 80026606
	s_mov_b64 exec, s[36:37]                                   // 0000000087EC: BEFE0124
	v_mov_b32_e32 v6, v79                                      // 0000000087F0: 7E0C034F
	s_mov_b64 s[60:61], 0                                      // 0000000087F4: BEBC0180
	v_readlane_b32 s82, v3, 22                                 // 0000000087F8: D2890052 00012D03
	s_and_b32 s82, s82, 0xffffff                               // 000000008800: 8652FF52 00FFFFFF
	s_cmp_lt_u32 s82, s66                                      // 000000008808: BF0A4252
	s_cselect_b32 s20, s36, s60                                // 00000000880C: 85143C24
	v_readlane_b32 s82, v3, 23                                 // 000000008810: D2890052 00012F03
	s_and_b32 s82, s82, 0xffffff                               // 000000008818: 8652FF52 00FFFFFF
	s_cmp_lt_u32 s82, s66                                      // 000000008820: BF0A4252
	s_cselect_b32 s21, s36, s60                                // 000000008824: 85153C24
	s_mov_b64 exec, s[20:21]                                   // 000000008828: BEFE0114
	buffer_store_dword v103, v6, s[8:11], 0 offen              // 00000000882C: E0701000 80026706
	s_mov_b64 exec, s[36:37]                                   // 000000008834: BEFE0124
	v_mov_b32_e32 v6, v80                                      // 000000008838: 7E0C0350
	s_mov_b64 s[60:61], 0                                      // 00000000883C: BEBC0180
	v_readlane_b32 s82, v3, 24                                 // 000000008840: D2890052 00013103
	s_and_b32 s82, s82, 0xffffff                               // 000000008848: 8652FF52 00FFFFFF
	s_cmp_lt_u32 s82, s66                                      // 000000008850: BF0A4252
	s_cselect_b32 s20, s36, s60                                // 000000008854: 85143C24
	v_readlane_b32 s82, v3, 25                                 // 000000008858: D2890052 00013303
	s_and_b32 s82, s82, 0xffffff                               // 000000008860: 8652FF52 00FFFFFF
	s_cmp_lt_u32 s82, s66                                      // 000000008868: BF0A4252
	s_cselect_b32 s21, s36, s60                                // 00000000886C: 85153C24
	s_mov_b64 exec, s[20:21]                                   // 000000008870: BEFE0114
	buffer_store_dword v104, v6, s[8:11], 0 offen              // 000000008874: E0701000 80026806
	s_mov_b64 exec, s[36:37]                                   // 00000000887C: BEFE0124
	v_mov_b32_e32 v6, v81                                      // 000000008880: 7E0C0351
	s_mov_b64 s[60:61], 0                                      // 000000008884: BEBC0180
	v_readlane_b32 s82, v3, 26                                 // 000000008888: D2890052 00013503
	s_and_b32 s82, s82, 0xffffff                               // 000000008890: 8652FF52 00FFFFFF
	s_cmp_lt_u32 s82, s66                                      // 000000008898: BF0A4252
	s_cselect_b32 s20, s36, s60                                // 00000000889C: 85143C24
	v_readlane_b32 s82, v3, 27                                 // 0000000088A0: D2890052 00013703
	s_and_b32 s82, s82, 0xffffff                               // 0000000088A8: 8652FF52 00FFFFFF
	s_cmp_lt_u32 s82, s66                                      // 0000000088B0: BF0A4252
	s_cselect_b32 s21, s36, s60                                // 0000000088B4: 85153C24
	s_mov_b64 exec, s[20:21]                                   // 0000000088B8: BEFE0114
	buffer_store_dword v105, v6, s[8:11], 0 offen              // 0000000088BC: E0701000 80026906
	s_mov_b64 exec, s[36:37]                                   // 0000000088C4: BEFE0124
	v_mov_b32_e32 v6, v82                                      // 0000000088C8: 7E0C0352
	s_mov_b64 s[60:61], 0                                      // 0000000088CC: BEBC0180
	v_readlane_b32 s82, v3, 28                                 // 0000000088D0: D2890052 00013903
	s_and_b32 s82, s82, 0xffffff                               // 0000000088D8: 8652FF52 00FFFFFF
	s_cmp_lt_u32 s82, s66                                      // 0000000088E0: BF0A4252
	s_cselect_b32 s20, s36, s60                                // 0000000088E4: 85143C24
	v_readlane_b32 s82, v3, 29                                 // 0000000088E8: D2890052 00013B03
	s_and_b32 s82, s82, 0xffffff                               // 0000000088F0: 8652FF52 00FFFFFF
	s_cmp_lt_u32 s82, s66                                      // 0000000088F8: BF0A4252
	s_cselect_b32 s21, s36, s60                                // 0000000088FC: 85153C24
	s_mov_b64 exec, s[20:21]                                   // 000000008900: BEFE0114
	buffer_store_dword v106, v6, s[8:11], 0 offen              // 000000008904: E0701000 80026A06
	s_mov_b64 exec, s[36:37]                                   // 00000000890C: BEFE0124
	v_mov_b32_e32 v6, v83                                      // 000000008910: 7E0C0353
	s_mov_b64 s[60:61], 0                                      // 000000008914: BEBC0180
	v_readlane_b32 s82, v3, 30                                 // 000000008918: D2890052 00013D03
	s_and_b32 s82, s82, 0xffffff                               // 000000008920: 8652FF52 00FFFFFF
	s_cmp_lt_u32 s82, s66                                      // 000000008928: BF0A4252
	s_cselect_b32 s20, s36, s60                                // 00000000892C: 85143C24
	v_readlane_b32 s82, v3, 31                                 // 000000008930: D2890052 00013F03
	s_and_b32 s82, s82, 0xffffff                               // 000000008938: 8652FF52 00FFFFFF
	s_cmp_lt_u32 s82, s66                                      // 000000008940: BF0A4252
	s_cselect_b32 s21, s36, s60                                // 000000008944: 85153C24
	s_mov_b64 exec, s[20:21]                                   // 000000008948: BEFE0114
	buffer_store_dword v107, v6, s[8:11], 0 offen              // 00000000894C: E0701000 80026B06
	s_mov_b64 exec, s[36:37]                                   // 000000008954: BEFE0124
	v_mov_b32_e32 v6, v84                                      // 000000008958: 7E0C0354
	s_mov_b64 s[60:61], 0                                      // 00000000895C: BEBC0180
	v_readlane_b32 s82, v3, 32                                 // 000000008960: D2890052 00014103
	s_and_b32 s82, s82, 0xffffff                               // 000000008968: 8652FF52 00FFFFFF
	s_cmp_lt_u32 s82, s66                                      // 000000008970: BF0A4252
	s_cselect_b32 s20, s36, s60                                // 000000008974: 85143C24
	v_readlane_b32 s82, v3, 33                                 // 000000008978: D2890052 00014303
	s_and_b32 s82, s82, 0xffffff                               // 000000008980: 8652FF52 00FFFFFF
	s_cmp_lt_u32 s82, s66                                      // 000000008988: BF0A4252
	s_cselect_b32 s21, s36, s60                                // 00000000898C: 85153C24
	s_mov_b64 exec, s[20:21]                                   // 000000008990: BEFE0114
	buffer_store_dword v108, v6, s[8:11], 0 offen              // 000000008994: E0701000 80026C06
	s_mov_b64 exec, s[36:37]                                   // 00000000899C: BEFE0124
	v_mov_b32_e32 v6, v85                                      // 0000000089A0: 7E0C0355
	s_mov_b64 s[60:61], 0                                      // 0000000089A4: BEBC0180
	v_readlane_b32 s82, v3, 34                                 // 0000000089A8: D2890052 00014503
	s_and_b32 s82, s82, 0xffffff                               // 0000000089B0: 8652FF52 00FFFFFF
	s_cmp_lt_u32 s82, s66                                      // 0000000089B8: BF0A4252
	s_cselect_b32 s20, s36, s60                                // 0000000089BC: 85143C24
	v_readlane_b32 s82, v3, 35                                 // 0000000089C0: D2890052 00014703
	s_and_b32 s82, s82, 0xffffff                               // 0000000089C8: 8652FF52 00FFFFFF
	s_cmp_lt_u32 s82, s66                                      // 0000000089D0: BF0A4252
	s_cselect_b32 s21, s36, s60                                // 0000000089D4: 85153C24
	s_mov_b64 exec, s[20:21]                                   // 0000000089D8: BEFE0114
	buffer_store_dword v109, v6, s[8:11], 0 offen              // 0000000089DC: E0701000 80026D06
	s_mov_b64 exec, s[36:37]                                   // 0000000089E4: BEFE0124
	v_mov_b32_e32 v6, v86                                      // 0000000089E8: 7E0C0356
	s_mov_b64 s[60:61], 0                                      // 0000000089EC: BEBC0180
	v_readlane_b32 s82, v3, 36                                 // 0000000089F0: D2890052 00014903
	s_and_b32 s82, s82, 0xffffff                               // 0000000089F8: 8652FF52 00FFFFFF
	s_cmp_lt_u32 s82, s66                                      // 000000008A00: BF0A4252
	s_cselect_b32 s20, s36, s60                                // 000000008A04: 85143C24
	v_readlane_b32 s82, v3, 37                                 // 000000008A08: D2890052 00014B03
	s_and_b32 s82, s82, 0xffffff                               // 000000008A10: 8652FF52 00FFFFFF
	s_cmp_lt_u32 s82, s66                                      // 000000008A18: BF0A4252
	s_cselect_b32 s21, s36, s60                                // 000000008A1C: 85153C24
	s_mov_b64 exec, s[20:21]                                   // 000000008A20: BEFE0114
	buffer_store_dword v110, v6, s[8:11], 0 offen              // 000000008A24: E0701000 80026E06
	s_mov_b64 exec, s[36:37]                                   // 000000008A2C: BEFE0124
	v_mov_b32_e32 v6, v87                                      // 000000008A30: 7E0C0357
	s_mov_b64 s[60:61], 0                                      // 000000008A34: BEBC0180
	v_readlane_b32 s82, v3, 38                                 // 000000008A38: D2890052 00014D03
	s_and_b32 s82, s82, 0xffffff                               // 000000008A40: 8652FF52 00FFFFFF
	s_cmp_lt_u32 s82, s66                                      // 000000008A48: BF0A4252
	s_cselect_b32 s20, s36, s60                                // 000000008A4C: 85143C24
	v_readlane_b32 s82, v3, 39                                 // 000000008A50: D2890052 00014F03
	s_and_b32 s82, s82, 0xffffff                               // 000000008A58: 8652FF52 00FFFFFF
	s_cmp_lt_u32 s82, s66                                      // 000000008A60: BF0A4252
	s_cselect_b32 s21, s36, s60                                // 000000008A64: 85153C24
	s_mov_b64 exec, s[20:21]                                   // 000000008A68: BEFE0114
	buffer_store_dword v111, v6, s[8:11], 0 offen              // 000000008A6C: E0701000 80026F06
	s_mov_b64 exec, s[36:37]                                   // 000000008A74: BEFE0124
	s_cmp_eq_u32 s7, 0                                         // 000000008A78: BF068007
	s_cbranch_scc0 label_40FC                                  // 000000008A7C: BF8428D9
	s_waitcnt vmcnt(20)                                        // 000000008A80: BF8C4F74
	s_mov_b32 s8, s90                                          // 000000008A84: BE88005A
	s_mov_b32 s9, s91                                          // 000000008A88: BE89005B
	s_mul_i32 s60, s66, s71                                    // 000000008A8C: 923C4742
	s_add_u32 s8, s60, s8                                      // 000000008A90: 8008083C
	s_addc_u32 s9, 0, s9                                       // 000000008A94: 82090980
	s_lshr_b32 s71, s71, 5                                     // 000000008A98: 8F478547
	s_mul_i32 s60, s66, s71                                    // 000000008A9C: 923C4742
	s_mov_b32 s10, s60                                         // 000000008AA0: BE8A003C
	s_lshr_b32 s61, s65, 5                                     // 000000008AA4: 8F3D8541
	s_mul_i32 s60, s2, 4                                       // 000000008AA8: 923C8402
	v_lshrrev_b32_e32 v4, 24, v28                              // 000000008AAC: 20083898
	v_mul_lo_u32 v4, s61, v4                                   // 000000008AB0: D2850004 0002083D
	v_and_b32_e32 v28, 0xffffff, v28                           // 000000008AB8: 263838FF 00FFFFFF
	v_mul_lo_u32 v28, s71, v28                                 // 000000008AC0: D285001C 00023847
	v_add_u32_e32 v28, v4, v28                                 // 000000008AC8: 68383904
	v_add_u32_e32 v28, s60, v28                                // 000000008ACC: 6838383C
	v_lshrrev_b32_e32 v4, 24, v29                              // 000000008AD0: 20083A98
	v_mul_lo_u32 v4, s61, v4                                   // 000000008AD4: D2850004 0002083D
	v_and_b32_e32 v29, 0xffffff, v29                           // 000000008ADC: 263A3AFF 00FFFFFF
	v_mul_lo_u32 v29, s71, v29                                 // 000000008AE4: D285001D 00023A47
	v_add_u32_e32 v29, v4, v29                                 // 000000008AEC: 683A3B04
	v_add_u32_e32 v29, s60, v29                                // 000000008AF0: 683A3A3C
	v_lshrrev_b32_e32 v4, 24, v30                              // 000000008AF4: 20083C98
	v_mul_lo_u32 v4, s61, v4                                   // 000000008AF8: D2850004 0002083D
	v_and_b32_e32 v30, 0xffffff, v30                           // 000000008B00: 263C3CFF 00FFFFFF
	v_mul_lo_u32 v30, s71, v30                                 // 000000008B08: D285001E 00023C47
	v_add_u32_e32 v30, v4, v30                                 // 000000008B10: 683C3D04
	v_add_u32_e32 v30, s60, v30                                // 000000008B14: 683C3C3C
	v_lshrrev_b32_e32 v4, 24, v31                              // 000000008B18: 20083E98
	v_mul_lo_u32 v4, s61, v4                                   // 000000008B1C: D2850004 0002083D
	v_and_b32_e32 v31, 0xffffff, v31                           // 000000008B24: 263E3EFF 00FFFFFF
	v_mul_lo_u32 v31, s71, v31                                 // 000000008B2C: D285001F 00023E47
	v_add_u32_e32 v31, v4, v31                                 // 000000008B34: 683E3F04
	v_add_u32_e32 v31, s60, v31                                // 000000008B38: 683E3E3C
	v_lshrrev_b32_e32 v4, 24, v32                              // 000000008B3C: 20084098
	v_mul_lo_u32 v4, s61, v4                                   // 000000008B40: D2850004 0002083D
	v_and_b32_e32 v32, 0xffffff, v32                           // 000000008B48: 264040FF 00FFFFFF
	v_mul_lo_u32 v32, s71, v32                                 // 000000008B50: D2850020 00024047
	v_add_u32_e32 v32, v4, v32                                 // 000000008B58: 68404104
	v_add_u32_e32 v32, s60, v32                                // 000000008B5C: 6840403C
	v_lshrrev_b32_e32 v4, 24, v33                              // 000000008B60: 20084298
	v_mul_lo_u32 v4, s61, v4                                   // 000000008B64: D2850004 0002083D
	v_and_b32_e32 v33, 0xffffff, v33                           // 000000008B6C: 264242FF 00FFFFFF
	v_mul_lo_u32 v33, s71, v33                                 // 000000008B74: D2850021 00024247
	v_add_u32_e32 v33, v4, v33                                 // 000000008B7C: 68424304
	v_add_u32_e32 v33, s60, v33                                // 000000008B80: 6842423C
	v_lshrrev_b32_e32 v4, 24, v34                              // 000000008B84: 20084498
	v_mul_lo_u32 v4, s61, v4                                   // 000000008B88: D2850004 0002083D
	v_and_b32_e32 v34, 0xffffff, v34                           // 000000008B90: 264444FF 00FFFFFF
	v_mul_lo_u32 v34, s71, v34                                 // 000000008B98: D2850022 00024447
	v_add_u32_e32 v34, v4, v34                                 // 000000008BA0: 68444504
	v_add_u32_e32 v34, s60, v34                                // 000000008BA4: 6844443C
	v_lshrrev_b32_e32 v4, 24, v35                              // 000000008BA8: 20084698
	v_mul_lo_u32 v4, s61, v4                                   // 000000008BAC: D2850004 0002083D
	v_and_b32_e32 v35, 0xffffff, v35                           // 000000008BB4: 264646FF 00FFFFFF
	v_mul_lo_u32 v35, s71, v35                                 // 000000008BBC: D2850023 00024647
	v_add_u32_e32 v35, v4, v35                                 // 000000008BC4: 68464704
	v_add_u32_e32 v35, s60, v35                                // 000000008BC8: 6846463C
	v_lshrrev_b32_e32 v4, 24, v36                              // 000000008BCC: 20084898
	v_mul_lo_u32 v4, s61, v4                                   // 000000008BD0: D2850004 0002083D
	v_and_b32_e32 v36, 0xffffff, v36                           // 000000008BD8: 264848FF 00FFFFFF
	v_mul_lo_u32 v36, s71, v36                                 // 000000008BE0: D2850024 00024847
	v_add_u32_e32 v36, v4, v36                                 // 000000008BE8: 68484904
	v_add_u32_e32 v36, s60, v36                                // 000000008BEC: 6848483C
	v_lshrrev_b32_e32 v4, 24, v37                              // 000000008BF0: 20084A98
	v_mul_lo_u32 v4, s61, v4                                   // 000000008BF4: D2850004 0002083D
	v_and_b32_e32 v37, 0xffffff, v37                           // 000000008BFC: 264A4AFF 00FFFFFF
	v_mul_lo_u32 v37, s71, v37                                 // 000000008C04: D2850025 00024A47
	v_add_u32_e32 v37, v4, v37                                 // 000000008C0C: 684A4B04
	v_add_u32_e32 v37, s60, v37                                // 000000008C10: 684A4A3C
	s_mov_b64 exec, 0xffff                                     // 000000008C14: BEFE01FF 0000FFFF
	buffer_store_dword v172, v28, s[8:11], 0 offen             // 000000008C1C: E0701000 8002AC1C
	buffer_store_dword v173, v29, s[8:11], 0 offen             // 000000008C24: E0701000 8002AD1D
	buffer_store_dword v174, v30, s[8:11], 0 offen             // 000000008C2C: E0701000 8002AE1E
	buffer_store_dword v175, v31, s[8:11], 0 offen             // 000000008C34: E0701000 8002AF1F
	buffer_store_dword v176, v32, s[8:11], 0 offen             // 000000008C3C: E0701000 8002B020
	buffer_store_dword v177, v33, s[8:11], 0 offen             // 000000008C44: E0701000 8002B121
	buffer_store_dword v178, v34, s[8:11], 0 offen             // 000000008C4C: E0701000 8002B222
	buffer_store_dword v179, v35, s[8:11], 0 offen             // 000000008C54: E0701000 8002B323
	buffer_store_dword v180, v36, s[8:11], 0 offen             // 000000008C5C: E0701000 8002B424
	buffer_store_dword v181, v37, s[8:11], 0 offen             // 000000008C64: E0701000 8002B525
	s_mov_b64 exec, s[36:37]                                   // 000000008C6C: BEFE0124
	s_branch label_40FC                                        // 000000008C70: BF82285C

0000000000008c74 <label_189D>:
	ds_write_b64 v20, v[92:93]                                 // 000000008C74: D89A0000 00005C14
	ds_write_b64 v20, v[96:97] offset:4352                     // 000000008C7C: D89A1100 00006014
	ds_write_b64 v20, v[100:101] offset:8704                   // 000000008C84: D89A2200 00006414
	ds_write_b64 v20, v[104:105] offset:13056                  // 000000008C8C: D89A3300 00006814
	ds_write_b64 v20, v[108:109] offset:17408                  // 000000008C94: D89A4400 00006C14
	ds_write_b64 v20, v[112:113] offset:21760                  // 000000008C9C: D89A5500 00007014
	ds_write_b64 v20, v[116:117] offset:26112                  // 000000008CA4: D89A6600 00007414
	ds_write_b64 v20, v[120:121] offset:30464                  // 000000008CAC: D89A7700 00007814
	ds_write_b64 v20, v[124:125] offset:34816                  // 000000008CB4: D89A8800 00007C14
	ds_write_b64 v20, v[128:129] offset:39168                  // 000000008CBC: D89A9900 00008014
	ds_write_b64 v20, v[132:133] offset:2176                   // 000000008CC4: D89A0880 00008414
	ds_write_b64 v20, v[136:137] offset:6528                   // 000000008CCC: D89A1980 00008814
	ds_write_b64 v20, v[140:141] offset:10880                  // 000000008CD4: D89A2A80 00008C14
	ds_write_b64 v20, v[144:145] offset:15232                  // 000000008CDC: D89A3B80 00009014
	ds_write_b64 v20, v[148:149] offset:19584                  // 000000008CE4: D89A4C80 00009414
	ds_write_b64 v20, v[152:153] offset:23936                  // 000000008CEC: D89A5D80 00009814
	ds_write_b64 v20, v[156:157] offset:28288                  // 000000008CF4: D89A6E80 00009C14
	ds_write_b64 v20, v[160:161] offset:32640                  // 000000008CFC: D89A7F80 0000A014
	ds_write_b64 v20, v[164:165] offset:36992                  // 000000008D04: D89A9080 0000A414
	ds_write_b64 v20, v[168:169] offset:41344                  // 000000008D0C: D89AA180 0000A814
	v_lshrrev_b32_e32 v4, 5, v0                                // 000000008D14: 20080085
	v_xor_b32_e32 v5, 1, v4                                    // 000000008D18: 2A0A0881
	s_mul_i32 s60, s65, 1                                      // 000000008D1C: 923C8141
	s_cmp_eq_u32 s88, 0                                        // 000000008D20: BF068058
	s_cselect_b32 s61, 1, 8                                    // 000000008D24: 853D8881
	s_mul_i32 s60, s61, s60                                    // 000000008D28: 923C3C3D
	v_readlane_b32 s82, v3, 0                                  // 000000008D2C: D2890052 00010103
	s_lshr_b32 s61, s82, 24                                    // 000000008D34: 8F3D9852
	s_and_b32 s82, s82, 0xffffff                               // 000000008D38: 8652FF52 00FFFFFF
	s_mul_i32 s82, s82, s71                                    // 000000008D40: 92524752
	s_mul_i32 s61, s60, s61                                    // 000000008D44: 923D3D3C
	s_add_u32 s82, s82, s61                                    // 000000008D48: 80523D52
	v_mul_lo_u32 v6, v5, s82                                   // 000000008D4C: D2850006 0000A505
	v_readlane_b32 s82, v3, 1                                  // 000000008D54: D2890052 00010303
	s_lshr_b32 s61, s82, 24                                    // 000000008D5C: 8F3D9852
	s_and_b32 s82, s82, 0xffffff                               // 000000008D60: 8652FF52 00FFFFFF
	s_mul_i32 s82, s82, s71                                    // 000000008D68: 92524752
	s_mul_i32 s61, s60, s61                                    // 000000008D6C: 923D3D3C
	s_add_u32 s82, s82, s61                                    // 000000008D70: 80523D52
	v_mul_lo_u32 v7, v4, s82                                   // 000000008D74: D2850007 0000A504
	v_add_u32_e32 v68, v6, v7                                  // 000000008D7C: 68880F06
	v_readlane_b32 s82, v3, 2                                  // 000000008D80: D2890052 00010503
	s_lshr_b32 s61, s82, 24                                    // 000000008D88: 8F3D9852
	s_and_b32 s82, s82, 0xffffff                               // 000000008D8C: 8652FF52 00FFFFFF
	s_mul_i32 s82, s82, s71                                    // 000000008D94: 92524752
	s_mul_i32 s61, s60, s61                                    // 000000008D98: 923D3D3C
	s_add_u32 s82, s82, s61                                    // 000000008D9C: 80523D52
	v_mul_lo_u32 v6, v5, s82                                   // 000000008DA0: D2850006 0000A505
	v_readlane_b32 s82, v3, 3                                  // 000000008DA8: D2890052 00010703
	s_lshr_b32 s61, s82, 24                                    // 000000008DB0: 8F3D9852
	s_and_b32 s82, s82, 0xffffff                               // 000000008DB4: 8652FF52 00FFFFFF
	s_mul_i32 s82, s82, s71                                    // 000000008DBC: 92524752
	s_mul_i32 s61, s60, s61                                    // 000000008DC0: 923D3D3C
	s_add_u32 s82, s82, s61                                    // 000000008DC4: 80523D52
	v_mul_lo_u32 v7, v4, s82                                   // 000000008DC8: D2850007 0000A504
	v_add_u32_e32 v69, v6, v7                                  // 000000008DD0: 688A0F06
	v_readlane_b32 s82, v3, 4                                  // 000000008DD4: D2890052 00010903
	s_lshr_b32 s61, s82, 24                                    // 000000008DDC: 8F3D9852
	s_and_b32 s82, s82, 0xffffff                               // 000000008DE0: 8652FF52 00FFFFFF
	s_mul_i32 s82, s82, s71                                    // 000000008DE8: 92524752
	s_mul_i32 s61, s60, s61                                    // 000000008DEC: 923D3D3C
	s_add_u32 s82, s82, s61                                    // 000000008DF0: 80523D52
	v_mul_lo_u32 v6, v5, s82                                   // 000000008DF4: D2850006 0000A505
	v_readlane_b32 s82, v3, 5                                  // 000000008DFC: D2890052 00010B03
	s_lshr_b32 s61, s82, 24                                    // 000000008E04: 8F3D9852
	s_and_b32 s82, s82, 0xffffff                               // 000000008E08: 8652FF52 00FFFFFF
	s_mul_i32 s82, s82, s71                                    // 000000008E10: 92524752
	s_mul_i32 s61, s60, s61                                    // 000000008E14: 923D3D3C
	s_add_u32 s82, s82, s61                                    // 000000008E18: 80523D52
	v_mul_lo_u32 v7, v4, s82                                   // 000000008E1C: D2850007 0000A504
	v_add_u32_e32 v70, v6, v7                                  // 000000008E24: 688C0F06
	v_readlane_b32 s82, v3, 6                                  // 000000008E28: D2890052 00010D03
	s_lshr_b32 s61, s82, 24                                    // 000000008E30: 8F3D9852
	s_and_b32 s82, s82, 0xffffff                               // 000000008E34: 8652FF52 00FFFFFF
	s_mul_i32 s82, s82, s71                                    // 000000008E3C: 92524752
	s_mul_i32 s61, s60, s61                                    // 000000008E40: 923D3D3C
	s_add_u32 s82, s82, s61                                    // 000000008E44: 80523D52
	v_mul_lo_u32 v6, v5, s82                                   // 000000008E48: D2850006 0000A505
	v_readlane_b32 s82, v3, 7                                  // 000000008E50: D2890052 00010F03
	s_lshr_b32 s61, s82, 24                                    // 000000008E58: 8F3D9852
	s_and_b32 s82, s82, 0xffffff                               // 000000008E5C: 8652FF52 00FFFFFF
	s_mul_i32 s82, s82, s71                                    // 000000008E64: 92524752
	s_mul_i32 s61, s60, s61                                    // 000000008E68: 923D3D3C
	s_add_u32 s82, s82, s61                                    // 000000008E6C: 80523D52
	v_mul_lo_u32 v7, v4, s82                                   // 000000008E70: D2850007 0000A504
	v_add_u32_e32 v71, v6, v7                                  // 000000008E78: 688E0F06
	v_readlane_b32 s82, v3, 8                                  // 000000008E7C: D2890052 00011103
	s_lshr_b32 s61, s82, 24                                    // 000000008E84: 8F3D9852
	s_and_b32 s82, s82, 0xffffff                               // 000000008E88: 8652FF52 00FFFFFF
	s_mul_i32 s82, s82, s71                                    // 000000008E90: 92524752
	s_mul_i32 s61, s60, s61                                    // 000000008E94: 923D3D3C
	s_add_u32 s82, s82, s61                                    // 000000008E98: 80523D52
	v_mul_lo_u32 v6, v5, s82                                   // 000000008E9C: D2850006 0000A505
	v_readlane_b32 s82, v3, 9                                  // 000000008EA4: D2890052 00011303
	s_lshr_b32 s61, s82, 24                                    // 000000008EAC: 8F3D9852
	s_and_b32 s82, s82, 0xffffff                               // 000000008EB0: 8652FF52 00FFFFFF
	s_mul_i32 s82, s82, s71                                    // 000000008EB8: 92524752
	s_mul_i32 s61, s60, s61                                    // 000000008EBC: 923D3D3C
	s_add_u32 s82, s82, s61                                    // 000000008EC0: 80523D52
	v_mul_lo_u32 v7, v4, s82                                   // 000000008EC4: D2850007 0000A504
	v_add_u32_e32 v72, v6, v7                                  // 000000008ECC: 68900F06
	v_readlane_b32 s82, v3, 10                                 // 000000008ED0: D2890052 00011503
	s_lshr_b32 s61, s82, 24                                    // 000000008ED8: 8F3D9852
	s_and_b32 s82, s82, 0xffffff                               // 000000008EDC: 8652FF52 00FFFFFF
	s_mul_i32 s82, s82, s71                                    // 000000008EE4: 92524752
	s_mul_i32 s61, s60, s61                                    // 000000008EE8: 923D3D3C
	s_add_u32 s82, s82, s61                                    // 000000008EEC: 80523D52
	v_mul_lo_u32 v6, v5, s82                                   // 000000008EF0: D2850006 0000A505
	v_readlane_b32 s82, v3, 11                                 // 000000008EF8: D2890052 00011703
	s_lshr_b32 s61, s82, 24                                    // 000000008F00: 8F3D9852
	s_and_b32 s82, s82, 0xffffff                               // 000000008F04: 8652FF52 00FFFFFF
	s_mul_i32 s82, s82, s71                                    // 000000008F0C: 92524752
	s_mul_i32 s61, s60, s61                                    // 000000008F10: 923D3D3C
	s_add_u32 s82, s82, s61                                    // 000000008F14: 80523D52
	v_mul_lo_u32 v7, v4, s82                                   // 000000008F18: D2850007 0000A504
	v_add_u32_e32 v73, v6, v7                                  // 000000008F20: 68920F06
	v_readlane_b32 s82, v3, 12                                 // 000000008F24: D2890052 00011903
	s_lshr_b32 s61, s82, 24                                    // 000000008F2C: 8F3D9852
	s_and_b32 s82, s82, 0xffffff                               // 000000008F30: 8652FF52 00FFFFFF
	s_mul_i32 s82, s82, s71                                    // 000000008F38: 92524752
	s_mul_i32 s61, s60, s61                                    // 000000008F3C: 923D3D3C
	s_add_u32 s82, s82, s61                                    // 000000008F40: 80523D52
	v_mul_lo_u32 v6, v5, s82                                   // 000000008F44: D2850006 0000A505
	v_readlane_b32 s82, v3, 13                                 // 000000008F4C: D2890052 00011B03
	s_lshr_b32 s61, s82, 24                                    // 000000008F54: 8F3D9852
	s_and_b32 s82, s82, 0xffffff                               // 000000008F58: 8652FF52 00FFFFFF
	s_mul_i32 s82, s82, s71                                    // 000000008F60: 92524752
	s_mul_i32 s61, s60, s61                                    // 000000008F64: 923D3D3C
	s_add_u32 s82, s82, s61                                    // 000000008F68: 80523D52
	v_mul_lo_u32 v7, v4, s82                                   // 000000008F6C: D2850007 0000A504
	v_add_u32_e32 v74, v6, v7                                  // 000000008F74: 68940F06
	v_readlane_b32 s82, v3, 14                                 // 000000008F78: D2890052 00011D03
	s_lshr_b32 s61, s82, 24                                    // 000000008F80: 8F3D9852
	s_and_b32 s82, s82, 0xffffff                               // 000000008F84: 8652FF52 00FFFFFF
	s_mul_i32 s82, s82, s71                                    // 000000008F8C: 92524752
	s_mul_i32 s61, s60, s61                                    // 000000008F90: 923D3D3C
	s_add_u32 s82, s82, s61                                    // 000000008F94: 80523D52
	v_mul_lo_u32 v6, v5, s82                                   // 000000008F98: D2850006 0000A505
	v_readlane_b32 s82, v3, 15                                 // 000000008FA0: D2890052 00011F03
	s_lshr_b32 s61, s82, 24                                    // 000000008FA8: 8F3D9852
	s_and_b32 s82, s82, 0xffffff                               // 000000008FAC: 8652FF52 00FFFFFF
	s_mul_i32 s82, s82, s71                                    // 000000008FB4: 92524752
	s_mul_i32 s61, s60, s61                                    // 000000008FB8: 923D3D3C
	s_add_u32 s82, s82, s61                                    // 000000008FBC: 80523D52
	v_mul_lo_u32 v7, v4, s82                                   // 000000008FC0: D2850007 0000A504
	v_add_u32_e32 v75, v6, v7                                  // 000000008FC8: 68960F06
	v_readlane_b32 s82, v3, 16                                 // 000000008FCC: D2890052 00012103
	s_lshr_b32 s61, s82, 24                                    // 000000008FD4: 8F3D9852
	s_and_b32 s82, s82, 0xffffff                               // 000000008FD8: 8652FF52 00FFFFFF
	s_mul_i32 s82, s82, s71                                    // 000000008FE0: 92524752
	s_mul_i32 s61, s60, s61                                    // 000000008FE4: 923D3D3C
	s_add_u32 s82, s82, s61                                    // 000000008FE8: 80523D52
	v_mul_lo_u32 v6, v5, s82                                   // 000000008FEC: D2850006 0000A505
	v_readlane_b32 s82, v3, 17                                 // 000000008FF4: D2890052 00012303
	s_lshr_b32 s61, s82, 24                                    // 000000008FFC: 8F3D9852
	s_and_b32 s82, s82, 0xffffff                               // 000000009000: 8652FF52 00FFFFFF
	s_mul_i32 s82, s82, s71                                    // 000000009008: 92524752
	s_mul_i32 s61, s60, s61                                    // 00000000900C: 923D3D3C
	s_add_u32 s82, s82, s61                                    // 000000009010: 80523D52
	v_mul_lo_u32 v7, v4, s82                                   // 000000009014: D2850007 0000A504
	v_add_u32_e32 v76, v6, v7                                  // 00000000901C: 68980F06
	v_readlane_b32 s82, v3, 18                                 // 000000009020: D2890052 00012503
	s_lshr_b32 s61, s82, 24                                    // 000000009028: 8F3D9852
	s_and_b32 s82, s82, 0xffffff                               // 00000000902C: 8652FF52 00FFFFFF
	s_mul_i32 s82, s82, s71                                    // 000000009034: 92524752
	s_mul_i32 s61, s60, s61                                    // 000000009038: 923D3D3C
	s_add_u32 s82, s82, s61                                    // 00000000903C: 80523D52
	v_mul_lo_u32 v6, v5, s82                                   // 000000009040: D2850006 0000A505
	v_readlane_b32 s82, v3, 19                                 // 000000009048: D2890052 00012703
	s_lshr_b32 s61, s82, 24                                    // 000000009050: 8F3D9852
	s_and_b32 s82, s82, 0xffffff                               // 000000009054: 8652FF52 00FFFFFF
	s_mul_i32 s82, s82, s71                                    // 00000000905C: 92524752
	s_mul_i32 s61, s60, s61                                    // 000000009060: 923D3D3C
	s_add_u32 s82, s82, s61                                    // 000000009064: 80523D52
	v_mul_lo_u32 v7, v4, s82                                   // 000000009068: D2850007 0000A504
	v_add_u32_e32 v77, v6, v7                                  // 000000009070: 689A0F06
	v_readlane_b32 s82, v3, 20                                 // 000000009074: D2890052 00012903
	s_lshr_b32 s61, s82, 24                                    // 00000000907C: 8F3D9852
	s_and_b32 s82, s82, 0xffffff                               // 000000009080: 8652FF52 00FFFFFF
	s_mul_i32 s82, s82, s71                                    // 000000009088: 92524752
	s_mul_i32 s61, s60, s61                                    // 00000000908C: 923D3D3C
	s_add_u32 s82, s82, s61                                    // 000000009090: 80523D52
	v_mul_lo_u32 v6, v5, s82                                   // 000000009094: D2850006 0000A505
	v_readlane_b32 s82, v3, 21                                 // 00000000909C: D2890052 00012B03
	s_lshr_b32 s61, s82, 24                                    // 0000000090A4: 8F3D9852
	s_and_b32 s82, s82, 0xffffff                               // 0000000090A8: 8652FF52 00FFFFFF
	s_mul_i32 s82, s82, s71                                    // 0000000090B0: 92524752
	s_mul_i32 s61, s60, s61                                    // 0000000090B4: 923D3D3C
	s_add_u32 s82, s82, s61                                    // 0000000090B8: 80523D52
	v_mul_lo_u32 v7, v4, s82                                   // 0000000090BC: D2850007 0000A504
	v_add_u32_e32 v78, v6, v7                                  // 0000000090C4: 689C0F06
	v_readlane_b32 s82, v3, 22                                 // 0000000090C8: D2890052 00012D03
	s_lshr_b32 s61, s82, 24                                    // 0000000090D0: 8F3D9852
	s_and_b32 s82, s82, 0xffffff                               // 0000000090D4: 8652FF52 00FFFFFF
	s_mul_i32 s82, s82, s71                                    // 0000000090DC: 92524752
	s_mul_i32 s61, s60, s61                                    // 0000000090E0: 923D3D3C
	s_add_u32 s82, s82, s61                                    // 0000000090E4: 80523D52
	v_mul_lo_u32 v6, v5, s82                                   // 0000000090E8: D2850006 0000A505
	v_readlane_b32 s82, v3, 23                                 // 0000000090F0: D2890052 00012F03
	s_lshr_b32 s61, s82, 24                                    // 0000000090F8: 8F3D9852
	s_and_b32 s82, s82, 0xffffff                               // 0000000090FC: 8652FF52 00FFFFFF
	s_mul_i32 s82, s82, s71                                    // 000000009104: 92524752
	s_mul_i32 s61, s60, s61                                    // 000000009108: 923D3D3C
	s_add_u32 s82, s82, s61                                    // 00000000910C: 80523D52
	v_mul_lo_u32 v7, v4, s82                                   // 000000009110: D2850007 0000A504
	v_add_u32_e32 v79, v6, v7                                  // 000000009118: 689E0F06
	v_readlane_b32 s82, v3, 24                                 // 00000000911C: D2890052 00013103
	s_lshr_b32 s61, s82, 24                                    // 000000009124: 8F3D9852
	s_and_b32 s82, s82, 0xffffff                               // 000000009128: 8652FF52 00FFFFFF
	s_mul_i32 s82, s82, s71                                    // 000000009130: 92524752
	s_mul_i32 s61, s60, s61                                    // 000000009134: 923D3D3C
	s_add_u32 s82, s82, s61                                    // 000000009138: 80523D52
	v_mul_lo_u32 v6, v5, s82                                   // 00000000913C: D2850006 0000A505
	v_readlane_b32 s82, v3, 25                                 // 000000009144: D2890052 00013303
	s_lshr_b32 s61, s82, 24                                    // 00000000914C: 8F3D9852
	s_and_b32 s82, s82, 0xffffff                               // 000000009150: 8652FF52 00FFFFFF
	s_mul_i32 s82, s82, s71                                    // 000000009158: 92524752
	s_mul_i32 s61, s60, s61                                    // 00000000915C: 923D3D3C
	s_add_u32 s82, s82, s61                                    // 000000009160: 80523D52
	v_mul_lo_u32 v7, v4, s82                                   // 000000009164: D2850007 0000A504
	v_add_u32_e32 v80, v6, v7                                  // 00000000916C: 68A00F06
	v_readlane_b32 s82, v3, 26                                 // 000000009170: D2890052 00013503
	s_lshr_b32 s61, s82, 24                                    // 000000009178: 8F3D9852
	s_and_b32 s82, s82, 0xffffff                               // 00000000917C: 8652FF52 00FFFFFF
	s_mul_i32 s82, s82, s71                                    // 000000009184: 92524752
	s_mul_i32 s61, s60, s61                                    // 000000009188: 923D3D3C
	s_add_u32 s82, s82, s61                                    // 00000000918C: 80523D52
	v_mul_lo_u32 v6, v5, s82                                   // 000000009190: D2850006 0000A505
	v_readlane_b32 s82, v3, 27                                 // 000000009198: D2890052 00013703
	s_lshr_b32 s61, s82, 24                                    // 0000000091A0: 8F3D9852
	s_and_b32 s82, s82, 0xffffff                               // 0000000091A4: 8652FF52 00FFFFFF
	s_mul_i32 s82, s82, s71                                    // 0000000091AC: 92524752
	s_mul_i32 s61, s60, s61                                    // 0000000091B0: 923D3D3C
	s_add_u32 s82, s82, s61                                    // 0000000091B4: 80523D52
	v_mul_lo_u32 v7, v4, s82                                   // 0000000091B8: D2850007 0000A504
	v_add_u32_e32 v81, v6, v7                                  // 0000000091C0: 68A20F06
	v_readlane_b32 s82, v3, 28                                 // 0000000091C4: D2890052 00013903
	s_lshr_b32 s61, s82, 24                                    // 0000000091CC: 8F3D9852
	s_and_b32 s82, s82, 0xffffff                               // 0000000091D0: 8652FF52 00FFFFFF
	s_mul_i32 s82, s82, s71                                    // 0000000091D8: 92524752
	s_mul_i32 s61, s60, s61                                    // 0000000091DC: 923D3D3C
	s_add_u32 s82, s82, s61                                    // 0000000091E0: 80523D52
	v_mul_lo_u32 v6, v5, s82                                   // 0000000091E4: D2850006 0000A505
	v_readlane_b32 s82, v3, 29                                 // 0000000091EC: D2890052 00013B03
	s_lshr_b32 s61, s82, 24                                    // 0000000091F4: 8F3D9852
	s_and_b32 s82, s82, 0xffffff                               // 0000000091F8: 8652FF52 00FFFFFF
	s_mul_i32 s82, s82, s71                                    // 000000009200: 92524752
	s_mul_i32 s61, s60, s61                                    // 000000009204: 923D3D3C
	s_add_u32 s82, s82, s61                                    // 000000009208: 80523D52
	v_mul_lo_u32 v7, v4, s82                                   // 00000000920C: D2850007 0000A504
	v_add_u32_e32 v82, v6, v7                                  // 000000009214: 68A40F06
	v_readlane_b32 s82, v3, 30                                 // 000000009218: D2890052 00013D03
	s_lshr_b32 s61, s82, 24                                    // 000000009220: 8F3D9852
	s_and_b32 s82, s82, 0xffffff                               // 000000009224: 8652FF52 00FFFFFF
	s_mul_i32 s82, s82, s71                                    // 00000000922C: 92524752
	s_mul_i32 s61, s60, s61                                    // 000000009230: 923D3D3C
	s_add_u32 s82, s82, s61                                    // 000000009234: 80523D52
	v_mul_lo_u32 v6, v5, s82                                   // 000000009238: D2850006 0000A505
	v_readlane_b32 s82, v3, 31                                 // 000000009240: D2890052 00013F03
	s_lshr_b32 s61, s82, 24                                    // 000000009248: 8F3D9852
	s_and_b32 s82, s82, 0xffffff                               // 00000000924C: 8652FF52 00FFFFFF
	s_mul_i32 s82, s82, s71                                    // 000000009254: 92524752
	s_mul_i32 s61, s60, s61                                    // 000000009258: 923D3D3C
	s_add_u32 s82, s82, s61                                    // 00000000925C: 80523D52
	v_mul_lo_u32 v7, v4, s82                                   // 000000009260: D2850007 0000A504
	v_add_u32_e32 v83, v6, v7                                  // 000000009268: 68A60F06
	v_readlane_b32 s82, v3, 32                                 // 00000000926C: D2890052 00014103
	s_lshr_b32 s61, s82, 24                                    // 000000009274: 8F3D9852
	s_and_b32 s82, s82, 0xffffff                               // 000000009278: 8652FF52 00FFFFFF
	s_mul_i32 s82, s82, s71                                    // 000000009280: 92524752
	s_mul_i32 s61, s60, s61                                    // 000000009284: 923D3D3C
	s_add_u32 s82, s82, s61                                    // 000000009288: 80523D52
	v_mul_lo_u32 v6, v5, s82                                   // 00000000928C: D2850006 0000A505
	v_readlane_b32 s82, v3, 33                                 // 000000009294: D2890052 00014303
	s_lshr_b32 s61, s82, 24                                    // 00000000929C: 8F3D9852
	s_and_b32 s82, s82, 0xffffff                               // 0000000092A0: 8652FF52 00FFFFFF
	s_mul_i32 s82, s82, s71                                    // 0000000092A8: 92524752
	s_mul_i32 s61, s60, s61                                    // 0000000092AC: 923D3D3C
	s_add_u32 s82, s82, s61                                    // 0000000092B0: 80523D52
	v_mul_lo_u32 v7, v4, s82                                   // 0000000092B4: D2850007 0000A504
	v_add_u32_e32 v84, v6, v7                                  // 0000000092BC: 68A80F06
	v_readlane_b32 s82, v3, 34                                 // 0000000092C0: D2890052 00014503
	s_lshr_b32 s61, s82, 24                                    // 0000000092C8: 8F3D9852
	s_and_b32 s82, s82, 0xffffff                               // 0000000092CC: 8652FF52 00FFFFFF
	s_mul_i32 s82, s82, s71                                    // 0000000092D4: 92524752
	s_mul_i32 s61, s60, s61                                    // 0000000092D8: 923D3D3C
	s_add_u32 s82, s82, s61                                    // 0000000092DC: 80523D52
	v_mul_lo_u32 v6, v5, s82                                   // 0000000092E0: D2850006 0000A505
	v_readlane_b32 s82, v3, 35                                 // 0000000092E8: D2890052 00014703
	s_lshr_b32 s61, s82, 24                                    // 0000000092F0: 8F3D9852
	s_and_b32 s82, s82, 0xffffff                               // 0000000092F4: 8652FF52 00FFFFFF
	s_mul_i32 s82, s82, s71                                    // 0000000092FC: 92524752
	s_mul_i32 s61, s60, s61                                    // 000000009300: 923D3D3C
	s_add_u32 s82, s82, s61                                    // 000000009304: 80523D52
	v_mul_lo_u32 v7, v4, s82                                   // 000000009308: D2850007 0000A504
	v_add_u32_e32 v85, v6, v7                                  // 000000009310: 68AA0F06
	v_readlane_b32 s82, v3, 36                                 // 000000009314: D2890052 00014903
	s_lshr_b32 s61, s82, 24                                    // 00000000931C: 8F3D9852
	s_and_b32 s82, s82, 0xffffff                               // 000000009320: 8652FF52 00FFFFFF
	s_mul_i32 s82, s82, s71                                    // 000000009328: 92524752
	s_mul_i32 s61, s60, s61                                    // 00000000932C: 923D3D3C
	s_add_u32 s82, s82, s61                                    // 000000009330: 80523D52
	v_mul_lo_u32 v6, v5, s82                                   // 000000009334: D2850006 0000A505
	v_readlane_b32 s82, v3, 37                                 // 00000000933C: D2890052 00014B03
	s_lshr_b32 s61, s82, 24                                    // 000000009344: 8F3D9852
	s_and_b32 s82, s82, 0xffffff                               // 000000009348: 8652FF52 00FFFFFF
	s_mul_i32 s82, s82, s71                                    // 000000009350: 92524752
	s_mul_i32 s61, s60, s61                                    // 000000009354: 923D3D3C
	s_add_u32 s82, s82, s61                                    // 000000009358: 80523D52
	v_mul_lo_u32 v7, v4, s82                                   // 00000000935C: D2850007 0000A504
	v_add_u32_e32 v86, v6, v7                                  // 000000009364: 68AC0F06
	v_readlane_b32 s82, v3, 38                                 // 000000009368: D2890052 00014D03
	s_lshr_b32 s61, s82, 24                                    // 000000009370: 8F3D9852
	s_and_b32 s82, s82, 0xffffff                               // 000000009374: 8652FF52 00FFFFFF
	s_mul_i32 s82, s82, s71                                    // 00000000937C: 92524752
	s_mul_i32 s61, s60, s61                                    // 000000009380: 923D3D3C
	s_add_u32 s82, s82, s61                                    // 000000009384: 80523D52
	v_mul_lo_u32 v6, v5, s82                                   // 000000009388: D2850006 0000A505
	v_readlane_b32 s82, v3, 39                                 // 000000009390: D2890052 00014F03
	s_lshr_b32 s61, s82, 24                                    // 000000009398: 8F3D9852
	s_and_b32 s82, s82, 0xffffff                               // 00000000939C: 8652FF52 00FFFFFF
	s_mul_i32 s82, s82, s71                                    // 0000000093A4: 92524752
	s_mul_i32 s61, s60, s61                                    // 0000000093A8: 923D3D3C
	s_add_u32 s82, s82, s61                                    // 0000000093AC: 80523D52
	v_mul_lo_u32 v7, v4, s82                                   // 0000000093B0: D2850007 0000A504
	v_add_u32_e32 v87, v6, v7                                  // 0000000093B8: 68AE0F06
	v_and_b32_e32 v4, 31, v0                                   // 0000000093BC: 2608009F
	v_lshrrev_b32_e32 v4, 1, v4                                // 0000000093C0: 20080881
	s_cmp_eq_u32 s88, 0                                        // 0000000093C4: BF068058
	s_cselect_b32 s61, 2, 4                                    // 0000000093C8: 853D8482
	v_mul_lo_u32 v4, v4, s61                                   // 0000000093CC: D2850004 00007B04
	v_and_b32_e64 v5, v0, 1                                    // 0000000093D4: D1130005 00010300
	v_add_u32_e32 v4, v4, v5                                   // 0000000093DC: 68080B04
	v_lshlrev_b32_e32 v4, 2, v4                                // 0000000093E0: 24080882
	v_add_u32_e32 v68, v68, v4                                 // 0000000093E4: 68880944
	v_add_u32_e32 v69, v69, v4                                 // 0000000093E8: 688A0945
	v_add_u32_e32 v70, v70, v4                                 // 0000000093EC: 688C0946
	v_add_u32_e32 v71, v71, v4                                 // 0000000093F0: 688E0947
	v_add_u32_e32 v72, v72, v4                                 // 0000000093F4: 68900948
	v_add_u32_e32 v73, v73, v4                                 // 0000000093F8: 68920949
	v_add_u32_e32 v74, v74, v4                                 // 0000000093FC: 6894094A
	v_add_u32_e32 v75, v75, v4                                 // 000000009400: 6896094B
	v_add_u32_e32 v76, v76, v4                                 // 000000009404: 6898094C
	v_add_u32_e32 v77, v77, v4                                 // 000000009408: 689A094D
	v_add_u32_e32 v78, v78, v4                                 // 00000000940C: 689C094E
	v_add_u32_e32 v79, v79, v4                                 // 000000009410: 689E094F
	v_add_u32_e32 v80, v80, v4                                 // 000000009414: 68A00950
	v_add_u32_e32 v81, v81, v4                                 // 000000009418: 68A20951
	v_add_u32_e32 v82, v82, v4                                 // 00000000941C: 68A40952
	v_add_u32_e32 v83, v83, v4                                 // 000000009420: 68A60953
	v_add_u32_e32 v84, v84, v4                                 // 000000009424: 68A80954
	v_add_u32_e32 v85, v85, v4                                 // 000000009428: 68AA0955
	v_add_u32_e32 v86, v86, v4                                 // 00000000942C: 68AC0956
	v_add_u32_e32 v87, v87, v4                                 // 000000009430: 68AE0957
	s_waitcnt lgkmcnt(0)                                       // 000000009434: BF8CC07F
	s_barrier                                                  // 000000009438: BF8A0000
	ds_read_b32 v92, v21                                       // 00000000943C: D86C0000 5C000015
	ds_read_b32 v93, v21 offset:64                             // 000000009444: D86C0040 5D000015
	ds_read_b32 v96, v21 offset:2176                           // 00000000944C: D86C0880 60000015
	ds_read_b32 v97, v21 offset:2240                           // 000000009454: D86C08C0 61000015
	ds_read_b32 v100, v21 offset:4352                          // 00000000945C: D86C1100 64000015
	ds_read_b32 v101, v21 offset:4416                          // 000000009464: D86C1140 65000015
	ds_read_b32 v104, v21 offset:6528                          // 00000000946C: D86C1980 68000015
	ds_read_b32 v105, v21 offset:6592                          // 000000009474: D86C19C0 69000015
	ds_read_b32 v108, v21 offset:8704                          // 00000000947C: D86C2200 6C000015
	ds_read_b32 v109, v21 offset:8768                          // 000000009484: D86C2240 6D000015
	ds_read_b32 v112, v21 offset:10880                         // 00000000948C: D86C2A80 70000015
	ds_read_b32 v113, v21 offset:10944                         // 000000009494: D86C2AC0 71000015
	ds_read_b32 v116, v21 offset:13056                         // 00000000949C: D86C3300 74000015
	ds_read_b32 v117, v21 offset:13120                         // 0000000094A4: D86C3340 75000015
	ds_read_b32 v120, v21 offset:15232                         // 0000000094AC: D86C3B80 78000015
	ds_read_b32 v121, v21 offset:15296                         // 0000000094B4: D86C3BC0 79000015
	ds_read_b32 v124, v21 offset:17408                         // 0000000094BC: D86C4400 7C000015
	ds_read_b32 v125, v21 offset:17472                         // 0000000094C4: D86C4440 7D000015
	ds_read_b32 v128, v21 offset:19584                         // 0000000094CC: D86C4C80 80000015
	ds_read_b32 v129, v21 offset:19648                         // 0000000094D4: D86C4CC0 81000015
	ds_read_b32 v132, v21 offset:21760                         // 0000000094DC: D86C5500 84000015
	ds_read_b32 v133, v21 offset:21824                         // 0000000094E4: D86C5540 85000015
	ds_read_b32 v136, v21 offset:23936                         // 0000000094EC: D86C5D80 88000015
	ds_read_b32 v137, v21 offset:24000                         // 0000000094F4: D86C5DC0 89000015
	ds_read_b32 v140, v21 offset:26112                         // 0000000094FC: D86C6600 8C000015
	ds_read_b32 v141, v21 offset:26176                         // 000000009504: D86C6640 8D000015
	ds_read_b32 v144, v21 offset:28288                         // 00000000950C: D86C6E80 90000015
	ds_read_b32 v145, v21 offset:28352                         // 000000009514: D86C6EC0 91000015
	ds_read_b32 v148, v21 offset:30464                         // 00000000951C: D86C7700 94000015
	ds_read_b32 v149, v21 offset:30528                         // 000000009524: D86C7740 95000015
	ds_read_b32 v152, v21 offset:32640                         // 00000000952C: D86C7F80 98000015
	ds_read_b32 v153, v21 offset:32704                         // 000000009534: D86C7FC0 99000015
	ds_read_b32 v156, v21 offset:34816                         // 00000000953C: D86C8800 9C000015
	ds_read_b32 v157, v21 offset:34880                         // 000000009544: D86C8840 9D000015
	ds_read_b32 v160, v21 offset:36992                         // 00000000954C: D86C9080 A0000015
	ds_read_b32 v161, v21 offset:37056                         // 000000009554: D86C90C0 A1000015
	ds_read_b32 v164, v21 offset:39168                         // 00000000955C: D86C9900 A4000015
	ds_read_b32 v165, v21 offset:39232                         // 000000009564: D86C9940 A5000015
	ds_read_b32 v168, v21 offset:41344                         // 00000000956C: D86CA180 A8000015
	ds_read_b32 v169, v21 offset:41408                         // 000000009574: D86CA1C0 A9000015
	s_waitcnt lgkmcnt(0)                                       // 00000000957C: BF8CC07F
	s_mov_b32 s36, -1                                          // 000000009580: BEA400C1
	s_mov_b32 s37, -1                                          // 000000009584: BEA500C1
	v_mov_b32_e32 v7, 0                                        // 000000009588: 7E0E0280
	s_mov_b64 exec, s[36:37]                                   // 00000000958C: BEFE0124
	v_mov_b32_e32 v6, v68                                      // 000000009590: 7E0C0344
	s_mov_b64 s[60:61], 0                                      // 000000009594: BEBC0180
	v_readlane_b32 s82, v3, 0                                  // 000000009598: D2890052 00010103
	s_and_b32 s82, s82, 0xffffff                               // 0000000095A0: 8652FF52 00FFFFFF
	s_cmp_lt_u32 s82, s66                                      // 0000000095A8: BF0A4252
	s_cselect_b32 s20, s36, s60                                // 0000000095AC: 85143C24
	v_readlane_b32 s82, v3, 1                                  // 0000000095B0: D2890052 00010303
	s_and_b32 s82, s82, 0xffffff                               // 0000000095B8: 8652FF52 00FFFFFF
	s_cmp_lt_u32 s82, s66                                      // 0000000095C0: BF0A4252
	s_cselect_b32 s21, s36, s60                                // 0000000095C4: 85153C24
	s_mov_b64 exec, s[20:21]                                   // 0000000095C8: BEFE0114
	global_atomic_add_f32 v6, v92, s[8:9]                      // 0000000095CC: DD348000 00085C06
	global_atomic_add_f32 v6, v96, s[8:9] offset:256           // 0000000095D4: DD348100 00086006
	s_mov_b64 exec, s[36:37]                                   // 0000000095DC: BEFE0124
	v_mov_b32_e32 v6, v69                                      // 0000000095E0: 7E0C0345
	s_mov_b64 s[60:61], 0                                      // 0000000095E4: BEBC0180
	v_readlane_b32 s82, v3, 2                                  // 0000000095E8: D2890052 00010503
	s_and_b32 s82, s82, 0xffffff                               // 0000000095F0: 8652FF52 00FFFFFF
	s_cmp_lt_u32 s82, s66                                      // 0000000095F8: BF0A4252
	s_cselect_b32 s20, s36, s60                                // 0000000095FC: 85143C24
	v_readlane_b32 s82, v3, 3                                  // 000000009600: D2890052 00010703
	s_and_b32 s82, s82, 0xffffff                               // 000000009608: 8652FF52 00FFFFFF
	s_cmp_lt_u32 s82, s66                                      // 000000009610: BF0A4252
	s_cselect_b32 s21, s36, s60                                // 000000009614: 85153C24
	s_mov_b64 exec, s[20:21]                                   // 000000009618: BEFE0114
	global_atomic_add_f32 v6, v93, s[8:9]                      // 00000000961C: DD348000 00085D06
	global_atomic_add_f32 v6, v97, s[8:9] offset:256           // 000000009624: DD348100 00086106
	s_mov_b64 exec, s[36:37]                                   // 00000000962C: BEFE0124
	v_mov_b32_e32 v6, v70                                      // 000000009630: 7E0C0346
	s_mov_b64 s[60:61], 0                                      // 000000009634: BEBC0180
	v_readlane_b32 s82, v3, 4                                  // 000000009638: D2890052 00010903
	s_and_b32 s82, s82, 0xffffff                               // 000000009640: 8652FF52 00FFFFFF
	s_cmp_lt_u32 s82, s66                                      // 000000009648: BF0A4252
	s_cselect_b32 s20, s36, s60                                // 00000000964C: 85143C24
	v_readlane_b32 s82, v3, 5                                  // 000000009650: D2890052 00010B03
	s_and_b32 s82, s82, 0xffffff                               // 000000009658: 8652FF52 00FFFFFF
	s_cmp_lt_u32 s82, s66                                      // 000000009660: BF0A4252
	s_cselect_b32 s21, s36, s60                                // 000000009664: 85153C24
	s_mov_b64 exec, s[20:21]                                   // 000000009668: BEFE0114
	global_atomic_add_f32 v6, v100, s[8:9]                     // 00000000966C: DD348000 00086406
	global_atomic_add_f32 v6, v104, s[8:9] offset:256          // 000000009674: DD348100 00086806
	s_mov_b64 exec, s[36:37]                                   // 00000000967C: BEFE0124
	v_mov_b32_e32 v6, v71                                      // 000000009680: 7E0C0347
	s_mov_b64 s[60:61], 0                                      // 000000009684: BEBC0180
	v_readlane_b32 s82, v3, 6                                  // 000000009688: D2890052 00010D03
	s_and_b32 s82, s82, 0xffffff                               // 000000009690: 8652FF52 00FFFFFF
	s_cmp_lt_u32 s82, s66                                      // 000000009698: BF0A4252
	s_cselect_b32 s20, s36, s60                                // 00000000969C: 85143C24
	v_readlane_b32 s82, v3, 7                                  // 0000000096A0: D2890052 00010F03
	s_and_b32 s82, s82, 0xffffff                               // 0000000096A8: 8652FF52 00FFFFFF
	s_cmp_lt_u32 s82, s66                                      // 0000000096B0: BF0A4252
	s_cselect_b32 s21, s36, s60                                // 0000000096B4: 85153C24
	s_mov_b64 exec, s[20:21]                                   // 0000000096B8: BEFE0114
	global_atomic_add_f32 v6, v101, s[8:9]                     // 0000000096BC: DD348000 00086506
	global_atomic_add_f32 v6, v105, s[8:9] offset:256          // 0000000096C4: DD348100 00086906
	s_mov_b64 exec, s[36:37]                                   // 0000000096CC: BEFE0124
	v_mov_b32_e32 v6, v72                                      // 0000000096D0: 7E0C0348
	s_mov_b64 s[60:61], 0                                      // 0000000096D4: BEBC0180
	v_readlane_b32 s82, v3, 8                                  // 0000000096D8: D2890052 00011103
	s_and_b32 s82, s82, 0xffffff                               // 0000000096E0: 8652FF52 00FFFFFF
	s_cmp_lt_u32 s82, s66                                      // 0000000096E8: BF0A4252
	s_cselect_b32 s20, s36, s60                                // 0000000096EC: 85143C24
	v_readlane_b32 s82, v3, 9                                  // 0000000096F0: D2890052 00011303
	s_and_b32 s82, s82, 0xffffff                               // 0000000096F8: 8652FF52 00FFFFFF
	s_cmp_lt_u32 s82, s66                                      // 000000009700: BF0A4252
	s_cselect_b32 s21, s36, s60                                // 000000009704: 85153C24
	s_mov_b64 exec, s[20:21]                                   // 000000009708: BEFE0114
	global_atomic_add_f32 v6, v108, s[8:9]                     // 00000000970C: DD348000 00086C06
	global_atomic_add_f32 v6, v112, s[8:9] offset:256          // 000000009714: DD348100 00087006
	s_mov_b64 exec, s[36:37]                                   // 00000000971C: BEFE0124
	v_mov_b32_e32 v6, v73                                      // 000000009720: 7E0C0349
	s_mov_b64 s[60:61], 0                                      // 000000009724: BEBC0180
	v_readlane_b32 s82, v3, 10                                 // 000000009728: D2890052 00011503
	s_and_b32 s82, s82, 0xffffff                               // 000000009730: 8652FF52 00FFFFFF
	s_cmp_lt_u32 s82, s66                                      // 000000009738: BF0A4252
	s_cselect_b32 s20, s36, s60                                // 00000000973C: 85143C24
	v_readlane_b32 s82, v3, 11                                 // 000000009740: D2890052 00011703
	s_and_b32 s82, s82, 0xffffff                               // 000000009748: 8652FF52 00FFFFFF
	s_cmp_lt_u32 s82, s66                                      // 000000009750: BF0A4252
	s_cselect_b32 s21, s36, s60                                // 000000009754: 85153C24
	s_mov_b64 exec, s[20:21]                                   // 000000009758: BEFE0114
	global_atomic_add_f32 v6, v109, s[8:9]                     // 00000000975C: DD348000 00086D06
	global_atomic_add_f32 v6, v113, s[8:9] offset:256          // 000000009764: DD348100 00087106
	s_mov_b64 exec, s[36:37]                                   // 00000000976C: BEFE0124
	v_mov_b32_e32 v6, v74                                      // 000000009770: 7E0C034A
	s_mov_b64 s[60:61], 0                                      // 000000009774: BEBC0180
	v_readlane_b32 s82, v3, 12                                 // 000000009778: D2890052 00011903
	s_and_b32 s82, s82, 0xffffff                               // 000000009780: 8652FF52 00FFFFFF
	s_cmp_lt_u32 s82, s66                                      // 000000009788: BF0A4252
	s_cselect_b32 s20, s36, s60                                // 00000000978C: 85143C24
	v_readlane_b32 s82, v3, 13                                 // 000000009790: D2890052 00011B03
	s_and_b32 s82, s82, 0xffffff                               // 000000009798: 8652FF52 00FFFFFF
	s_cmp_lt_u32 s82, s66                                      // 0000000097A0: BF0A4252
	s_cselect_b32 s21, s36, s60                                // 0000000097A4: 85153C24
	s_mov_b64 exec, s[20:21]                                   // 0000000097A8: BEFE0114
	global_atomic_add_f32 v6, v116, s[8:9]                     // 0000000097AC: DD348000 00087406
	global_atomic_add_f32 v6, v120, s[8:9] offset:256          // 0000000097B4: DD348100 00087806
	s_mov_b64 exec, s[36:37]                                   // 0000000097BC: BEFE0124
	v_mov_b32_e32 v6, v75                                      // 0000000097C0: 7E0C034B
	s_mov_b64 s[60:61], 0                                      // 0000000097C4: BEBC0180
	v_readlane_b32 s82, v3, 14                                 // 0000000097C8: D2890052 00011D03
	s_and_b32 s82, s82, 0xffffff                               // 0000000097D0: 8652FF52 00FFFFFF
	s_cmp_lt_u32 s82, s66                                      // 0000000097D8: BF0A4252
	s_cselect_b32 s20, s36, s60                                // 0000000097DC: 85143C24
	v_readlane_b32 s82, v3, 15                                 // 0000000097E0: D2890052 00011F03
	s_and_b32 s82, s82, 0xffffff                               // 0000000097E8: 8652FF52 00FFFFFF
	s_cmp_lt_u32 s82, s66                                      // 0000000097F0: BF0A4252
	s_cselect_b32 s21, s36, s60                                // 0000000097F4: 85153C24
	s_mov_b64 exec, s[20:21]                                   // 0000000097F8: BEFE0114
	global_atomic_add_f32 v6, v117, s[8:9]                     // 0000000097FC: DD348000 00087506
	global_atomic_add_f32 v6, v121, s[8:9] offset:256          // 000000009804: DD348100 00087906
	s_mov_b64 exec, s[36:37]                                   // 00000000980C: BEFE0124
	v_mov_b32_e32 v6, v76                                      // 000000009810: 7E0C034C
	s_mov_b64 s[60:61], 0                                      // 000000009814: BEBC0180
	v_readlane_b32 s82, v3, 16                                 // 000000009818: D2890052 00012103
	s_and_b32 s82, s82, 0xffffff                               // 000000009820: 8652FF52 00FFFFFF
	s_cmp_lt_u32 s82, s66                                      // 000000009828: BF0A4252
	s_cselect_b32 s20, s36, s60                                // 00000000982C: 85143C24
	v_readlane_b32 s82, v3, 17                                 // 000000009830: D2890052 00012303
	s_and_b32 s82, s82, 0xffffff                               // 000000009838: 8652FF52 00FFFFFF
	s_cmp_lt_u32 s82, s66                                      // 000000009840: BF0A4252
	s_cselect_b32 s21, s36, s60                                // 000000009844: 85153C24
	s_mov_b64 exec, s[20:21]                                   // 000000009848: BEFE0114
	global_atomic_add_f32 v6, v124, s[8:9]                     // 00000000984C: DD348000 00087C06
	global_atomic_add_f32 v6, v128, s[8:9] offset:256          // 000000009854: DD348100 00088006
	s_mov_b64 exec, s[36:37]                                   // 00000000985C: BEFE0124
	v_mov_b32_e32 v6, v77                                      // 000000009860: 7E0C034D
	s_mov_b64 s[60:61], 0                                      // 000000009864: BEBC0180
	v_readlane_b32 s82, v3, 18                                 // 000000009868: D2890052 00012503
	s_and_b32 s82, s82, 0xffffff                               // 000000009870: 8652FF52 00FFFFFF
	s_cmp_lt_u32 s82, s66                                      // 000000009878: BF0A4252
	s_cselect_b32 s20, s36, s60                                // 00000000987C: 85143C24
	v_readlane_b32 s82, v3, 19                                 // 000000009880: D2890052 00012703
	s_and_b32 s82, s82, 0xffffff                               // 000000009888: 8652FF52 00FFFFFF
	s_cmp_lt_u32 s82, s66                                      // 000000009890: BF0A4252
	s_cselect_b32 s21, s36, s60                                // 000000009894: 85153C24
	s_mov_b64 exec, s[20:21]                                   // 000000009898: BEFE0114
	global_atomic_add_f32 v6, v125, s[8:9]                     // 00000000989C: DD348000 00087D06
	global_atomic_add_f32 v6, v129, s[8:9] offset:256          // 0000000098A4: DD348100 00088106
	s_mov_b64 exec, s[36:37]                                   // 0000000098AC: BEFE0124
	v_mov_b32_e32 v6, v78                                      // 0000000098B0: 7E0C034E
	s_mov_b64 s[60:61], 0                                      // 0000000098B4: BEBC0180
	v_readlane_b32 s82, v3, 20                                 // 0000000098B8: D2890052 00012903
	s_and_b32 s82, s82, 0xffffff                               // 0000000098C0: 8652FF52 00FFFFFF
	s_cmp_lt_u32 s82, s66                                      // 0000000098C8: BF0A4252
	s_cselect_b32 s20, s36, s60                                // 0000000098CC: 85143C24
	v_readlane_b32 s82, v3, 21                                 // 0000000098D0: D2890052 00012B03
	s_and_b32 s82, s82, 0xffffff                               // 0000000098D8: 8652FF52 00FFFFFF
	s_cmp_lt_u32 s82, s66                                      // 0000000098E0: BF0A4252
	s_cselect_b32 s21, s36, s60                                // 0000000098E4: 85153C24
	s_mov_b64 exec, s[20:21]                                   // 0000000098E8: BEFE0114
	global_atomic_add_f32 v6, v132, s[8:9]                     // 0000000098EC: DD348000 00088406
	global_atomic_add_f32 v6, v136, s[8:9] offset:256          // 0000000098F4: DD348100 00088806
	s_mov_b64 exec, s[36:37]                                   // 0000000098FC: BEFE0124
	v_mov_b32_e32 v6, v79                                      // 000000009900: 7E0C034F
	s_mov_b64 s[60:61], 0                                      // 000000009904: BEBC0180
	v_readlane_b32 s82, v3, 22                                 // 000000009908: D2890052 00012D03
	s_and_b32 s82, s82, 0xffffff                               // 000000009910: 8652FF52 00FFFFFF
	s_cmp_lt_u32 s82, s66                                      // 000000009918: BF0A4252
	s_cselect_b32 s20, s36, s60                                // 00000000991C: 85143C24
	v_readlane_b32 s82, v3, 23                                 // 000000009920: D2890052 00012F03
	s_and_b32 s82, s82, 0xffffff                               // 000000009928: 8652FF52 00FFFFFF
	s_cmp_lt_u32 s82, s66                                      // 000000009930: BF0A4252
	s_cselect_b32 s21, s36, s60                                // 000000009934: 85153C24
	s_mov_b64 exec, s[20:21]                                   // 000000009938: BEFE0114
	global_atomic_add_f32 v6, v133, s[8:9]                     // 00000000993C: DD348000 00088506
	global_atomic_add_f32 v6, v137, s[8:9] offset:256          // 000000009944: DD348100 00088906
	s_mov_b64 exec, s[36:37]                                   // 00000000994C: BEFE0124
	v_mov_b32_e32 v6, v80                                      // 000000009950: 7E0C0350
	s_mov_b64 s[60:61], 0                                      // 000000009954: BEBC0180
	v_readlane_b32 s82, v3, 24                                 // 000000009958: D2890052 00013103
	s_and_b32 s82, s82, 0xffffff                               // 000000009960: 8652FF52 00FFFFFF
	s_cmp_lt_u32 s82, s66                                      // 000000009968: BF0A4252
	s_cselect_b32 s20, s36, s60                                // 00000000996C: 85143C24
	v_readlane_b32 s82, v3, 25                                 // 000000009970: D2890052 00013303
	s_and_b32 s82, s82, 0xffffff                               // 000000009978: 8652FF52 00FFFFFF
	s_cmp_lt_u32 s82, s66                                      // 000000009980: BF0A4252
	s_cselect_b32 s21, s36, s60                                // 000000009984: 85153C24
	s_mov_b64 exec, s[20:21]                                   // 000000009988: BEFE0114
	global_atomic_add_f32 v6, v140, s[8:9]                     // 00000000998C: DD348000 00088C06
	global_atomic_add_f32 v6, v144, s[8:9] offset:256          // 000000009994: DD348100 00089006
	s_mov_b64 exec, s[36:37]                                   // 00000000999C: BEFE0124
	v_mov_b32_e32 v6, v81                                      // 0000000099A0: 7E0C0351
	s_mov_b64 s[60:61], 0                                      // 0000000099A4: BEBC0180
	v_readlane_b32 s82, v3, 26                                 // 0000000099A8: D2890052 00013503
	s_and_b32 s82, s82, 0xffffff                               // 0000000099B0: 8652FF52 00FFFFFF
	s_cmp_lt_u32 s82, s66                                      // 0000000099B8: BF0A4252
	s_cselect_b32 s20, s36, s60                                // 0000000099BC: 85143C24
	v_readlane_b32 s82, v3, 27                                 // 0000000099C0: D2890052 00013703
	s_and_b32 s82, s82, 0xffffff                               // 0000000099C8: 8652FF52 00FFFFFF
	s_cmp_lt_u32 s82, s66                                      // 0000000099D0: BF0A4252
	s_cselect_b32 s21, s36, s60                                // 0000000099D4: 85153C24
	s_mov_b64 exec, s[20:21]                                   // 0000000099D8: BEFE0114
	global_atomic_add_f32 v6, v141, s[8:9]                     // 0000000099DC: DD348000 00088D06
	global_atomic_add_f32 v6, v145, s[8:9] offset:256          // 0000000099E4: DD348100 00089106
	s_mov_b64 exec, s[36:37]                                   // 0000000099EC: BEFE0124
	v_mov_b32_e32 v6, v82                                      // 0000000099F0: 7E0C0352
	s_mov_b64 s[60:61], 0                                      // 0000000099F4: BEBC0180
	v_readlane_b32 s82, v3, 28                                 // 0000000099F8: D2890052 00013903
	s_and_b32 s82, s82, 0xffffff                               // 000000009A00: 8652FF52 00FFFFFF
	s_cmp_lt_u32 s82, s66                                      // 000000009A08: BF0A4252
	s_cselect_b32 s20, s36, s60                                // 000000009A0C: 85143C24
	v_readlane_b32 s82, v3, 29                                 // 000000009A10: D2890052 00013B03
	s_and_b32 s82, s82, 0xffffff                               // 000000009A18: 8652FF52 00FFFFFF
	s_cmp_lt_u32 s82, s66                                      // 000000009A20: BF0A4252
	s_cselect_b32 s21, s36, s60                                // 000000009A24: 85153C24
	s_mov_b64 exec, s[20:21]                                   // 000000009A28: BEFE0114
	global_atomic_add_f32 v6, v148, s[8:9]                     // 000000009A2C: DD348000 00089406
	global_atomic_add_f32 v6, v152, s[8:9] offset:256          // 000000009A34: DD348100 00089806
	s_mov_b64 exec, s[36:37]                                   // 000000009A3C: BEFE0124
	v_mov_b32_e32 v6, v83                                      // 000000009A40: 7E0C0353
	s_mov_b64 s[60:61], 0                                      // 000000009A44: BEBC0180
	v_readlane_b32 s82, v3, 30                                 // 000000009A48: D2890052 00013D03
	s_and_b32 s82, s82, 0xffffff                               // 000000009A50: 8652FF52 00FFFFFF
	s_cmp_lt_u32 s82, s66                                      // 000000009A58: BF0A4252
	s_cselect_b32 s20, s36, s60                                // 000000009A5C: 85143C24
	v_readlane_b32 s82, v3, 31                                 // 000000009A60: D2890052 00013F03
	s_and_b32 s82, s82, 0xffffff                               // 000000009A68: 8652FF52 00FFFFFF
	s_cmp_lt_u32 s82, s66                                      // 000000009A70: BF0A4252
	s_cselect_b32 s21, s36, s60                                // 000000009A74: 85153C24
	s_mov_b64 exec, s[20:21]                                   // 000000009A78: BEFE0114
	global_atomic_add_f32 v6, v149, s[8:9]                     // 000000009A7C: DD348000 00089506
	global_atomic_add_f32 v6, v153, s[8:9] offset:256          // 000000009A84: DD348100 00089906
	s_mov_b64 exec, s[36:37]                                   // 000000009A8C: BEFE0124
	v_mov_b32_e32 v6, v84                                      // 000000009A90: 7E0C0354
	s_mov_b64 s[60:61], 0                                      // 000000009A94: BEBC0180
	v_readlane_b32 s82, v3, 32                                 // 000000009A98: D2890052 00014103
	s_and_b32 s82, s82, 0xffffff                               // 000000009AA0: 8652FF52 00FFFFFF
	s_cmp_lt_u32 s82, s66                                      // 000000009AA8: BF0A4252
	s_cselect_b32 s20, s36, s60                                // 000000009AAC: 85143C24
	v_readlane_b32 s82, v3, 33                                 // 000000009AB0: D2890052 00014303
	s_and_b32 s82, s82, 0xffffff                               // 000000009AB8: 8652FF52 00FFFFFF
	s_cmp_lt_u32 s82, s66                                      // 000000009AC0: BF0A4252
	s_cselect_b32 s21, s36, s60                                // 000000009AC4: 85153C24
	s_mov_b64 exec, s[20:21]                                   // 000000009AC8: BEFE0114
	global_atomic_add_f32 v6, v156, s[8:9]                     // 000000009ACC: DD348000 00089C06
	global_atomic_add_f32 v6, v160, s[8:9] offset:256          // 000000009AD4: DD348100 0008A006
	s_mov_b64 exec, s[36:37]                                   // 000000009ADC: BEFE0124
	v_mov_b32_e32 v6, v85                                      // 000000009AE0: 7E0C0355
	s_mov_b64 s[60:61], 0                                      // 000000009AE4: BEBC0180
	v_readlane_b32 s82, v3, 34                                 // 000000009AE8: D2890052 00014503
	s_and_b32 s82, s82, 0xffffff                               // 000000009AF0: 8652FF52 00FFFFFF
	s_cmp_lt_u32 s82, s66                                      // 000000009AF8: BF0A4252
	s_cselect_b32 s20, s36, s60                                // 000000009AFC: 85143C24
	v_readlane_b32 s82, v3, 35                                 // 000000009B00: D2890052 00014703
	s_and_b32 s82, s82, 0xffffff                               // 000000009B08: 8652FF52 00FFFFFF
	s_cmp_lt_u32 s82, s66                                      // 000000009B10: BF0A4252
	s_cselect_b32 s21, s36, s60                                // 000000009B14: 85153C24
	s_mov_b64 exec, s[20:21]                                   // 000000009B18: BEFE0114
	global_atomic_add_f32 v6, v157, s[8:9]                     // 000000009B1C: DD348000 00089D06
	global_atomic_add_f32 v6, v161, s[8:9] offset:256          // 000000009B24: DD348100 0008A106
	s_mov_b64 exec, s[36:37]                                   // 000000009B2C: BEFE0124
	v_mov_b32_e32 v6, v86                                      // 000000009B30: 7E0C0356
	s_mov_b64 s[60:61], 0                                      // 000000009B34: BEBC0180
	v_readlane_b32 s82, v3, 36                                 // 000000009B38: D2890052 00014903
	s_and_b32 s82, s82, 0xffffff                               // 000000009B40: 8652FF52 00FFFFFF
	s_cmp_lt_u32 s82, s66                                      // 000000009B48: BF0A4252
	s_cselect_b32 s20, s36, s60                                // 000000009B4C: 85143C24
	v_readlane_b32 s82, v3, 37                                 // 000000009B50: D2890052 00014B03
	s_and_b32 s82, s82, 0xffffff                               // 000000009B58: 8652FF52 00FFFFFF
	s_cmp_lt_u32 s82, s66                                      // 000000009B60: BF0A4252
	s_cselect_b32 s21, s36, s60                                // 000000009B64: 85153C24
	s_mov_b64 exec, s[20:21]                                   // 000000009B68: BEFE0114
	global_atomic_add_f32 v6, v164, s[8:9]                     // 000000009B6C: DD348000 0008A406
	global_atomic_add_f32 v6, v168, s[8:9] offset:256          // 000000009B74: DD348100 0008A806
	s_mov_b64 exec, s[36:37]                                   // 000000009B7C: BEFE0124
	v_mov_b32_e32 v6, v87                                      // 000000009B80: 7E0C0357
	s_mov_b64 s[60:61], 0                                      // 000000009B84: BEBC0180
	v_readlane_b32 s82, v3, 38                                 // 000000009B88: D2890052 00014D03
	s_and_b32 s82, s82, 0xffffff                               // 000000009B90: 8652FF52 00FFFFFF
	s_cmp_lt_u32 s82, s66                                      // 000000009B98: BF0A4252
	s_cselect_b32 s20, s36, s60                                // 000000009B9C: 85143C24
	v_readlane_b32 s82, v3, 39                                 // 000000009BA0: D2890052 00014F03
	s_and_b32 s82, s82, 0xffffff                               // 000000009BA8: 8652FF52 00FFFFFF
	s_cmp_lt_u32 s82, s66                                      // 000000009BB0: BF0A4252
	s_cselect_b32 s21, s36, s60                                // 000000009BB4: 85153C24
	s_mov_b64 exec, s[20:21]                                   // 000000009BB8: BEFE0114
	global_atomic_add_f32 v6, v165, s[8:9]                     // 000000009BBC: DD348000 0008A506
	global_atomic_add_f32 v6, v169, s[8:9] offset:256          // 000000009BC4: DD348100 0008A906
	s_mov_b64 exec, s[36:37]                                   // 000000009BCC: BEFE0124
	ds_write_b64 v20, v[94:95]                                 // 000000009BD0: D89A0000 00005E14
	ds_write_b64 v20, v[98:99] offset:4352                     // 000000009BD8: D89A1100 00006214
	ds_write_b64 v20, v[102:103] offset:8704                   // 000000009BE0: D89A2200 00006614
	ds_write_b64 v20, v[106:107] offset:13056                  // 000000009BE8: D89A3300 00006A14
	ds_write_b64 v20, v[110:111] offset:17408                  // 000000009BF0: D89A4400 00006E14
	ds_write_b64 v20, v[114:115] offset:21760                  // 000000009BF8: D89A5500 00007214
	ds_write_b64 v20, v[118:119] offset:26112                  // 000000009C00: D89A6600 00007614
	ds_write_b64 v20, v[122:123] offset:30464                  // 000000009C08: D89A7700 00007A14
	ds_write_b64 v20, v[126:127] offset:34816                  // 000000009C10: D89A8800 00007E14
	ds_write_b64 v20, v[130:131] offset:39168                  // 000000009C18: D89A9900 00008214
	ds_write_b64 v20, v[134:135] offset:2176                   // 000000009C20: D89A0880 00008614
	ds_write_b64 v20, v[138:139] offset:6528                   // 000000009C28: D89A1980 00008A14
	ds_write_b64 v20, v[142:143] offset:10880                  // 000000009C30: D89A2A80 00008E14
	ds_write_b64 v20, v[146:147] offset:15232                  // 000000009C38: D89A3B80 00009214
	ds_write_b64 v20, v[150:151] offset:19584                  // 000000009C40: D89A4C80 00009614
	ds_write_b64 v20, v[154:155] offset:23936                  // 000000009C48: D89A5D80 00009A14
	ds_write_b64 v20, v[158:159] offset:28288                  // 000000009C50: D89A6E80 00009E14
	ds_write_b64 v20, v[162:163] offset:32640                  // 000000009C58: D89A7F80 0000A214
	ds_write_b64 v20, v[166:167] offset:36992                  // 000000009C60: D89A9080 0000A614
	ds_write_b64 v20, v[170:171] offset:41344                  // 000000009C68: D89AA180 0000AA14
	s_waitcnt lgkmcnt(0)                                       // 000000009C70: BF8CC07F
	s_barrier                                                  // 000000009C74: BF8A0000
	ds_read_b32 v94, v21                                       // 000000009C78: D86C0000 5E000015
	ds_read_b32 v95, v21 offset:64                             // 000000009C80: D86C0040 5F000015
	ds_read_b32 v98, v21 offset:2176                           // 000000009C88: D86C0880 62000015
	ds_read_b32 v99, v21 offset:2240                           // 000000009C90: D86C08C0 63000015
	ds_read_b32 v102, v21 offset:4352                          // 000000009C98: D86C1100 66000015
	ds_read_b32 v103, v21 offset:4416                          // 000000009CA0: D86C1140 67000015
	ds_read_b32 v106, v21 offset:6528                          // 000000009CA8: D86C1980 6A000015
	ds_read_b32 v107, v21 offset:6592                          // 000000009CB0: D86C19C0 6B000015
	ds_read_b32 v110, v21 offset:8704                          // 000000009CB8: D86C2200 6E000015
	ds_read_b32 v111, v21 offset:8768                          // 000000009CC0: D86C2240 6F000015
	ds_read_b32 v114, v21 offset:10880                         // 000000009CC8: D86C2A80 72000015
	ds_read_b32 v115, v21 offset:10944                         // 000000009CD0: D86C2AC0 73000015
	ds_read_b32 v118, v21 offset:13056                         // 000000009CD8: D86C3300 76000015
	ds_read_b32 v119, v21 offset:13120                         // 000000009CE0: D86C3340 77000015
	ds_read_b32 v122, v21 offset:15232                         // 000000009CE8: D86C3B80 7A000015
	ds_read_b32 v123, v21 offset:15296                         // 000000009CF0: D86C3BC0 7B000015
	ds_read_b32 v126, v21 offset:17408                         // 000000009CF8: D86C4400 7E000015
	ds_read_b32 v127, v21 offset:17472                         // 000000009D00: D86C4440 7F000015
	ds_read_b32 v130, v21 offset:19584                         // 000000009D08: D86C4C80 82000015
	ds_read_b32 v131, v21 offset:19648                         // 000000009D10: D86C4CC0 83000015
	ds_read_b32 v134, v21 offset:21760                         // 000000009D18: D86C5500 86000015
	ds_read_b32 v135, v21 offset:21824                         // 000000009D20: D86C5540 87000015
	ds_read_b32 v138, v21 offset:23936                         // 000000009D28: D86C5D80 8A000015
	ds_read_b32 v139, v21 offset:24000                         // 000000009D30: D86C5DC0 8B000015
	ds_read_b32 v142, v21 offset:26112                         // 000000009D38: D86C6600 8E000015
	ds_read_b32 v143, v21 offset:26176                         // 000000009D40: D86C6640 8F000015
	ds_read_b32 v146, v21 offset:28288                         // 000000009D48: D86C6E80 92000015
	ds_read_b32 v147, v21 offset:28352                         // 000000009D50: D86C6EC0 93000015
	ds_read_b32 v150, v21 offset:30464                         // 000000009D58: D86C7700 96000015
	ds_read_b32 v151, v21 offset:30528                         // 000000009D60: D86C7740 97000015
	ds_read_b32 v154, v21 offset:32640                         // 000000009D68: D86C7F80 9A000015
	ds_read_b32 v155, v21 offset:32704                         // 000000009D70: D86C7FC0 9B000015
	ds_read_b32 v158, v21 offset:34816                         // 000000009D78: D86C8800 9E000015
	ds_read_b32 v159, v21 offset:34880                         // 000000009D80: D86C8840 9F000015
	ds_read_b32 v162, v21 offset:36992                         // 000000009D88: D86C9080 A2000015
	ds_read_b32 v163, v21 offset:37056                         // 000000009D90: D86C90C0 A3000015
	ds_read_b32 v166, v21 offset:39168                         // 000000009D98: D86C9900 A6000015
	ds_read_b32 v167, v21 offset:39232                         // 000000009DA0: D86C9940 A7000015
	ds_read_b32 v170, v21 offset:41344                         // 000000009DA8: D86CA180 AA000015
	ds_read_b32 v171, v21 offset:41408                         // 000000009DB0: D86CA1C0 AB000015
	s_waitcnt lgkmcnt(0)                                       // 000000009DB8: BF8CC07F
	v_mov_b32_e32 v7, 0                                        // 000000009DBC: 7E0E0280
	s_mov_b64 exec, s[36:37]                                   // 000000009DC0: BEFE0124
	v_mov_b32_e32 v6, v68                                      // 000000009DC4: 7E0C0344
	s_mov_b64 s[60:61], 0                                      // 000000009DC8: BEBC0180
	v_readlane_b32 s82, v3, 0                                  // 000000009DCC: D2890052 00010103
	s_and_b32 s82, s82, 0xffffff                               // 000000009DD4: 8652FF52 00FFFFFF
	s_cmp_lt_u32 s82, s66                                      // 000000009DDC: BF0A4252
	s_cselect_b32 s20, s36, s60                                // 000000009DE0: 85143C24
	v_readlane_b32 s82, v3, 1                                  // 000000009DE4: D2890052 00010303
	s_and_b32 s82, s82, 0xffffff                               // 000000009DEC: 8652FF52 00FFFFFF
	s_cmp_lt_u32 s82, s66                                      // 000000009DF4: BF0A4252
	s_cselect_b32 s21, s36, s60                                // 000000009DF8: 85153C24
	s_mov_b64 exec, s[20:21]                                   // 000000009DFC: BEFE0114
	global_atomic_add_f32 v6, v94, s[8:9] offset:8             // 000000009E00: DD348008 00085E06
	global_atomic_add_f32 v6, v98, s[8:9] offset:264           // 000000009E08: DD348108 00086206
	s_mov_b64 exec, s[36:37]                                   // 000000009E10: BEFE0124
	v_mov_b32_e32 v6, v69                                      // 000000009E14: 7E0C0345
	s_mov_b64 s[60:61], 0                                      // 000000009E18: BEBC0180
	v_readlane_b32 s82, v3, 2                                  // 000000009E1C: D2890052 00010503
	s_and_b32 s82, s82, 0xffffff                               // 000000009E24: 8652FF52 00FFFFFF
	s_cmp_lt_u32 s82, s66                                      // 000000009E2C: BF0A4252
	s_cselect_b32 s20, s36, s60                                // 000000009E30: 85143C24
	v_readlane_b32 s82, v3, 3                                  // 000000009E34: D2890052 00010703
	s_and_b32 s82, s82, 0xffffff                               // 000000009E3C: 8652FF52 00FFFFFF
	s_cmp_lt_u32 s82, s66                                      // 000000009E44: BF0A4252
	s_cselect_b32 s21, s36, s60                                // 000000009E48: 85153C24
	s_mov_b64 exec, s[20:21]                                   // 000000009E4C: BEFE0114
	global_atomic_add_f32 v6, v95, s[8:9] offset:8             // 000000009E50: DD348008 00085F06
	global_atomic_add_f32 v6, v99, s[8:9] offset:264           // 000000009E58: DD348108 00086306
	s_mov_b64 exec, s[36:37]                                   // 000000009E60: BEFE0124
	v_mov_b32_e32 v6, v70                                      // 000000009E64: 7E0C0346
	s_mov_b64 s[60:61], 0                                      // 000000009E68: BEBC0180
	v_readlane_b32 s82, v3, 4                                  // 000000009E6C: D2890052 00010903
	s_and_b32 s82, s82, 0xffffff                               // 000000009E74: 8652FF52 00FFFFFF
	s_cmp_lt_u32 s82, s66                                      // 000000009E7C: BF0A4252
	s_cselect_b32 s20, s36, s60                                // 000000009E80: 85143C24
	v_readlane_b32 s82, v3, 5                                  // 000000009E84: D2890052 00010B03
	s_and_b32 s82, s82, 0xffffff                               // 000000009E8C: 8652FF52 00FFFFFF
	s_cmp_lt_u32 s82, s66                                      // 000000009E94: BF0A4252
	s_cselect_b32 s21, s36, s60                                // 000000009E98: 85153C24
	s_mov_b64 exec, s[20:21]                                   // 000000009E9C: BEFE0114
	global_atomic_add_f32 v6, v102, s[8:9] offset:8            // 000000009EA0: DD348008 00086606
	global_atomic_add_f32 v6, v106, s[8:9] offset:264          // 000000009EA8: DD348108 00086A06
	s_mov_b64 exec, s[36:37]                                   // 000000009EB0: BEFE0124
	v_mov_b32_e32 v6, v71                                      // 000000009EB4: 7E0C0347
	s_mov_b64 s[60:61], 0                                      // 000000009EB8: BEBC0180
	v_readlane_b32 s82, v3, 6                                  // 000000009EBC: D2890052 00010D03
	s_and_b32 s82, s82, 0xffffff                               // 000000009EC4: 8652FF52 00FFFFFF
	s_cmp_lt_u32 s82, s66                                      // 000000009ECC: BF0A4252
	s_cselect_b32 s20, s36, s60                                // 000000009ED0: 85143C24
	v_readlane_b32 s82, v3, 7                                  // 000000009ED4: D2890052 00010F03
	s_and_b32 s82, s82, 0xffffff                               // 000000009EDC: 8652FF52 00FFFFFF
	s_cmp_lt_u32 s82, s66                                      // 000000009EE4: BF0A4252
	s_cselect_b32 s21, s36, s60                                // 000000009EE8: 85153C24
	s_mov_b64 exec, s[20:21]                                   // 000000009EEC: BEFE0114
	global_atomic_add_f32 v6, v103, s[8:9] offset:8            // 000000009EF0: DD348008 00086706
	global_atomic_add_f32 v6, v107, s[8:9] offset:264          // 000000009EF8: DD348108 00086B06
	s_mov_b64 exec, s[36:37]                                   // 000000009F00: BEFE0124
	v_mov_b32_e32 v6, v72                                      // 000000009F04: 7E0C0348
	s_mov_b64 s[60:61], 0                                      // 000000009F08: BEBC0180
	v_readlane_b32 s82, v3, 8                                  // 000000009F0C: D2890052 00011103
	s_and_b32 s82, s82, 0xffffff                               // 000000009F14: 8652FF52 00FFFFFF
	s_cmp_lt_u32 s82, s66                                      // 000000009F1C: BF0A4252
	s_cselect_b32 s20, s36, s60                                // 000000009F20: 85143C24
	v_readlane_b32 s82, v3, 9                                  // 000000009F24: D2890052 00011303
	s_and_b32 s82, s82, 0xffffff                               // 000000009F2C: 8652FF52 00FFFFFF
	s_cmp_lt_u32 s82, s66                                      // 000000009F34: BF0A4252
	s_cselect_b32 s21, s36, s60                                // 000000009F38: 85153C24
	s_mov_b64 exec, s[20:21]                                   // 000000009F3C: BEFE0114
	global_atomic_add_f32 v6, v110, s[8:9] offset:8            // 000000009F40: DD348008 00086E06
	global_atomic_add_f32 v6, v114, s[8:9] offset:264          // 000000009F48: DD348108 00087206
	s_mov_b64 exec, s[36:37]                                   // 000000009F50: BEFE0124
	v_mov_b32_e32 v6, v73                                      // 000000009F54: 7E0C0349
	s_mov_b64 s[60:61], 0                                      // 000000009F58: BEBC0180
	v_readlane_b32 s82, v3, 10                                 // 000000009F5C: D2890052 00011503
	s_and_b32 s82, s82, 0xffffff                               // 000000009F64: 8652FF52 00FFFFFF
	s_cmp_lt_u32 s82, s66                                      // 000000009F6C: BF0A4252
	s_cselect_b32 s20, s36, s60                                // 000000009F70: 85143C24
	v_readlane_b32 s82, v3, 11                                 // 000000009F74: D2890052 00011703
	s_and_b32 s82, s82, 0xffffff                               // 000000009F7C: 8652FF52 00FFFFFF
	s_cmp_lt_u32 s82, s66                                      // 000000009F84: BF0A4252
	s_cselect_b32 s21, s36, s60                                // 000000009F88: 85153C24
	s_mov_b64 exec, s[20:21]                                   // 000000009F8C: BEFE0114
	global_atomic_add_f32 v6, v111, s[8:9] offset:8            // 000000009F90: DD348008 00086F06
	global_atomic_add_f32 v6, v115, s[8:9] offset:264          // 000000009F98: DD348108 00087306
	s_mov_b64 exec, s[36:37]                                   // 000000009FA0: BEFE0124
	v_mov_b32_e32 v6, v74                                      // 000000009FA4: 7E0C034A
	s_mov_b64 s[60:61], 0                                      // 000000009FA8: BEBC0180
	v_readlane_b32 s82, v3, 12                                 // 000000009FAC: D2890052 00011903
	s_and_b32 s82, s82, 0xffffff                               // 000000009FB4: 8652FF52 00FFFFFF
	s_cmp_lt_u32 s82, s66                                      // 000000009FBC: BF0A4252
	s_cselect_b32 s20, s36, s60                                // 000000009FC0: 85143C24
	v_readlane_b32 s82, v3, 13                                 // 000000009FC4: D2890052 00011B03
	s_and_b32 s82, s82, 0xffffff                               // 000000009FCC: 8652FF52 00FFFFFF
	s_cmp_lt_u32 s82, s66                                      // 000000009FD4: BF0A4252
	s_cselect_b32 s21, s36, s60                                // 000000009FD8: 85153C24
	s_mov_b64 exec, s[20:21]                                   // 000000009FDC: BEFE0114
	global_atomic_add_f32 v6, v118, s[8:9] offset:8            // 000000009FE0: DD348008 00087606
	global_atomic_add_f32 v6, v122, s[8:9] offset:264          // 000000009FE8: DD348108 00087A06
	s_mov_b64 exec, s[36:37]                                   // 000000009FF0: BEFE0124
	v_mov_b32_e32 v6, v75                                      // 000000009FF4: 7E0C034B
	s_mov_b64 s[60:61], 0                                      // 000000009FF8: BEBC0180
	v_readlane_b32 s82, v3, 14                                 // 000000009FFC: D2890052 00011D03
	s_and_b32 s82, s82, 0xffffff                               // 00000000A004: 8652FF52 00FFFFFF
	s_cmp_lt_u32 s82, s66                                      // 00000000A00C: BF0A4252
	s_cselect_b32 s20, s36, s60                                // 00000000A010: 85143C24
	v_readlane_b32 s82, v3, 15                                 // 00000000A014: D2890052 00011F03
	s_and_b32 s82, s82, 0xffffff                               // 00000000A01C: 8652FF52 00FFFFFF
	s_cmp_lt_u32 s82, s66                                      // 00000000A024: BF0A4252
	s_cselect_b32 s21, s36, s60                                // 00000000A028: 85153C24
	s_mov_b64 exec, s[20:21]                                   // 00000000A02C: BEFE0114
	global_atomic_add_f32 v6, v119, s[8:9] offset:8            // 00000000A030: DD348008 00087706
	global_atomic_add_f32 v6, v123, s[8:9] offset:264          // 00000000A038: DD348108 00087B06
	s_mov_b64 exec, s[36:37]                                   // 00000000A040: BEFE0124
	v_mov_b32_e32 v6, v76                                      // 00000000A044: 7E0C034C
	s_mov_b64 s[60:61], 0                                      // 00000000A048: BEBC0180
	v_readlane_b32 s82, v3, 16                                 // 00000000A04C: D2890052 00012103
	s_and_b32 s82, s82, 0xffffff                               // 00000000A054: 8652FF52 00FFFFFF
	s_cmp_lt_u32 s82, s66                                      // 00000000A05C: BF0A4252
	s_cselect_b32 s20, s36, s60                                // 00000000A060: 85143C24
	v_readlane_b32 s82, v3, 17                                 // 00000000A064: D2890052 00012303
	s_and_b32 s82, s82, 0xffffff                               // 00000000A06C: 8652FF52 00FFFFFF
	s_cmp_lt_u32 s82, s66                                      // 00000000A074: BF0A4252
	s_cselect_b32 s21, s36, s60                                // 00000000A078: 85153C24
	s_mov_b64 exec, s[20:21]                                   // 00000000A07C: BEFE0114
	global_atomic_add_f32 v6, v126, s[8:9] offset:8            // 00000000A080: DD348008 00087E06
	global_atomic_add_f32 v6, v130, s[8:9] offset:264          // 00000000A088: DD348108 00088206
	s_mov_b64 exec, s[36:37]                                   // 00000000A090: BEFE0124
	v_mov_b32_e32 v6, v77                                      // 00000000A094: 7E0C034D
	s_mov_b64 s[60:61], 0                                      // 00000000A098: BEBC0180
	v_readlane_b32 s82, v3, 18                                 // 00000000A09C: D2890052 00012503
	s_and_b32 s82, s82, 0xffffff                               // 00000000A0A4: 8652FF52 00FFFFFF
	s_cmp_lt_u32 s82, s66                                      // 00000000A0AC: BF0A4252
	s_cselect_b32 s20, s36, s60                                // 00000000A0B0: 85143C24
	v_readlane_b32 s82, v3, 19                                 // 00000000A0B4: D2890052 00012703
	s_and_b32 s82, s82, 0xffffff                               // 00000000A0BC: 8652FF52 00FFFFFF
	s_cmp_lt_u32 s82, s66                                      // 00000000A0C4: BF0A4252
	s_cselect_b32 s21, s36, s60                                // 00000000A0C8: 85153C24
	s_mov_b64 exec, s[20:21]                                   // 00000000A0CC: BEFE0114
	global_atomic_add_f32 v6, v127, s[8:9] offset:8            // 00000000A0D0: DD348008 00087F06
	global_atomic_add_f32 v6, v131, s[8:9] offset:264          // 00000000A0D8: DD348108 00088306
	s_mov_b64 exec, s[36:37]                                   // 00000000A0E0: BEFE0124
	v_mov_b32_e32 v6, v78                                      // 00000000A0E4: 7E0C034E
	s_mov_b64 s[60:61], 0                                      // 00000000A0E8: BEBC0180
	v_readlane_b32 s82, v3, 20                                 // 00000000A0EC: D2890052 00012903
	s_and_b32 s82, s82, 0xffffff                               // 00000000A0F4: 8652FF52 00FFFFFF
	s_cmp_lt_u32 s82, s66                                      // 00000000A0FC: BF0A4252
	s_cselect_b32 s20, s36, s60                                // 00000000A100: 85143C24
	v_readlane_b32 s82, v3, 21                                 // 00000000A104: D2890052 00012B03
	s_and_b32 s82, s82, 0xffffff                               // 00000000A10C: 8652FF52 00FFFFFF
	s_cmp_lt_u32 s82, s66                                      // 00000000A114: BF0A4252
	s_cselect_b32 s21, s36, s60                                // 00000000A118: 85153C24
	s_mov_b64 exec, s[20:21]                                   // 00000000A11C: BEFE0114
	global_atomic_add_f32 v6, v134, s[8:9] offset:8            // 00000000A120: DD348008 00088606
	global_atomic_add_f32 v6, v138, s[8:9] offset:264          // 00000000A128: DD348108 00088A06
	s_mov_b64 exec, s[36:37]                                   // 00000000A130: BEFE0124
	v_mov_b32_e32 v6, v79                                      // 00000000A134: 7E0C034F
	s_mov_b64 s[60:61], 0                                      // 00000000A138: BEBC0180
	v_readlane_b32 s82, v3, 22                                 // 00000000A13C: D2890052 00012D03
	s_and_b32 s82, s82, 0xffffff                               // 00000000A144: 8652FF52 00FFFFFF
	s_cmp_lt_u32 s82, s66                                      // 00000000A14C: BF0A4252
	s_cselect_b32 s20, s36, s60                                // 00000000A150: 85143C24
	v_readlane_b32 s82, v3, 23                                 // 00000000A154: D2890052 00012F03
	s_and_b32 s82, s82, 0xffffff                               // 00000000A15C: 8652FF52 00FFFFFF
	s_cmp_lt_u32 s82, s66                                      // 00000000A164: BF0A4252
	s_cselect_b32 s21, s36, s60                                // 00000000A168: 85153C24
	s_mov_b64 exec, s[20:21]                                   // 00000000A16C: BEFE0114
	global_atomic_add_f32 v6, v135, s[8:9] offset:8            // 00000000A170: DD348008 00088706
	global_atomic_add_f32 v6, v139, s[8:9] offset:264          // 00000000A178: DD348108 00088B06
	s_mov_b64 exec, s[36:37]                                   // 00000000A180: BEFE0124
	v_mov_b32_e32 v6, v80                                      // 00000000A184: 7E0C0350
	s_mov_b64 s[60:61], 0                                      // 00000000A188: BEBC0180
	v_readlane_b32 s82, v3, 24                                 // 00000000A18C: D2890052 00013103
	s_and_b32 s82, s82, 0xffffff                               // 00000000A194: 8652FF52 00FFFFFF
	s_cmp_lt_u32 s82, s66                                      // 00000000A19C: BF0A4252
	s_cselect_b32 s20, s36, s60                                // 00000000A1A0: 85143C24
	v_readlane_b32 s82, v3, 25                                 // 00000000A1A4: D2890052 00013303
	s_and_b32 s82, s82, 0xffffff                               // 00000000A1AC: 8652FF52 00FFFFFF
	s_cmp_lt_u32 s82, s66                                      // 00000000A1B4: BF0A4252
	s_cselect_b32 s21, s36, s60                                // 00000000A1B8: 85153C24
	s_mov_b64 exec, s[20:21]                                   // 00000000A1BC: BEFE0114
	global_atomic_add_f32 v6, v142, s[8:9] offset:8            // 00000000A1C0: DD348008 00088E06
	global_atomic_add_f32 v6, v146, s[8:9] offset:264          // 00000000A1C8: DD348108 00089206
	s_mov_b64 exec, s[36:37]                                   // 00000000A1D0: BEFE0124
	v_mov_b32_e32 v6, v81                                      // 00000000A1D4: 7E0C0351
	s_mov_b64 s[60:61], 0                                      // 00000000A1D8: BEBC0180
	v_readlane_b32 s82, v3, 26                                 // 00000000A1DC: D2890052 00013503
	s_and_b32 s82, s82, 0xffffff                               // 00000000A1E4: 8652FF52 00FFFFFF
	s_cmp_lt_u32 s82, s66                                      // 00000000A1EC: BF0A4252
	s_cselect_b32 s20, s36, s60                                // 00000000A1F0: 85143C24
	v_readlane_b32 s82, v3, 27                                 // 00000000A1F4: D2890052 00013703
	s_and_b32 s82, s82, 0xffffff                               // 00000000A1FC: 8652FF52 00FFFFFF
	s_cmp_lt_u32 s82, s66                                      // 00000000A204: BF0A4252
	s_cselect_b32 s21, s36, s60                                // 00000000A208: 85153C24
	s_mov_b64 exec, s[20:21]                                   // 00000000A20C: BEFE0114
	global_atomic_add_f32 v6, v143, s[8:9] offset:8            // 00000000A210: DD348008 00088F06
	global_atomic_add_f32 v6, v147, s[8:9] offset:264          // 00000000A218: DD348108 00089306
	s_mov_b64 exec, s[36:37]                                   // 00000000A220: BEFE0124
	v_mov_b32_e32 v6, v82                                      // 00000000A224: 7E0C0352
	s_mov_b64 s[60:61], 0                                      // 00000000A228: BEBC0180
	v_readlane_b32 s82, v3, 28                                 // 00000000A22C: D2890052 00013903
	s_and_b32 s82, s82, 0xffffff                               // 00000000A234: 8652FF52 00FFFFFF
	s_cmp_lt_u32 s82, s66                                      // 00000000A23C: BF0A4252
	s_cselect_b32 s20, s36, s60                                // 00000000A240: 85143C24
	v_readlane_b32 s82, v3, 29                                 // 00000000A244: D2890052 00013B03
	s_and_b32 s82, s82, 0xffffff                               // 00000000A24C: 8652FF52 00FFFFFF
	s_cmp_lt_u32 s82, s66                                      // 00000000A254: BF0A4252
	s_cselect_b32 s21, s36, s60                                // 00000000A258: 85153C24
	s_mov_b64 exec, s[20:21]                                   // 00000000A25C: BEFE0114
	global_atomic_add_f32 v6, v150, s[8:9] offset:8            // 00000000A260: DD348008 00089606
	global_atomic_add_f32 v6, v154, s[8:9] offset:264          // 00000000A268: DD348108 00089A06
	s_mov_b64 exec, s[36:37]                                   // 00000000A270: BEFE0124
	v_mov_b32_e32 v6, v83                                      // 00000000A274: 7E0C0353
	s_mov_b64 s[60:61], 0                                      // 00000000A278: BEBC0180
	v_readlane_b32 s82, v3, 30                                 // 00000000A27C: D2890052 00013D03
	s_and_b32 s82, s82, 0xffffff                               // 00000000A284: 8652FF52 00FFFFFF
	s_cmp_lt_u32 s82, s66                                      // 00000000A28C: BF0A4252
	s_cselect_b32 s20, s36, s60                                // 00000000A290: 85143C24
	v_readlane_b32 s82, v3, 31                                 // 00000000A294: D2890052 00013F03
	s_and_b32 s82, s82, 0xffffff                               // 00000000A29C: 8652FF52 00FFFFFF
	s_cmp_lt_u32 s82, s66                                      // 00000000A2A4: BF0A4252
	s_cselect_b32 s21, s36, s60                                // 00000000A2A8: 85153C24
	s_mov_b64 exec, s[20:21]                                   // 00000000A2AC: BEFE0114
	global_atomic_add_f32 v6, v151, s[8:9] offset:8            // 00000000A2B0: DD348008 00089706
	global_atomic_add_f32 v6, v155, s[8:9] offset:264          // 00000000A2B8: DD348108 00089B06
	s_mov_b64 exec, s[36:37]                                   // 00000000A2C0: BEFE0124
	v_mov_b32_e32 v6, v84                                      // 00000000A2C4: 7E0C0354
	s_mov_b64 s[60:61], 0                                      // 00000000A2C8: BEBC0180
	v_readlane_b32 s82, v3, 32                                 // 00000000A2CC: D2890052 00014103
	s_and_b32 s82, s82, 0xffffff                               // 00000000A2D4: 8652FF52 00FFFFFF
	s_cmp_lt_u32 s82, s66                                      // 00000000A2DC: BF0A4252
	s_cselect_b32 s20, s36, s60                                // 00000000A2E0: 85143C24
	v_readlane_b32 s82, v3, 33                                 // 00000000A2E4: D2890052 00014303
	s_and_b32 s82, s82, 0xffffff                               // 00000000A2EC: 8652FF52 00FFFFFF
	s_cmp_lt_u32 s82, s66                                      // 00000000A2F4: BF0A4252
	s_cselect_b32 s21, s36, s60                                // 00000000A2F8: 85153C24
	s_mov_b64 exec, s[20:21]                                   // 00000000A2FC: BEFE0114
	global_atomic_add_f32 v6, v158, s[8:9] offset:8            // 00000000A300: DD348008 00089E06
	global_atomic_add_f32 v6, v162, s[8:9] offset:264          // 00000000A308: DD348108 0008A206
	s_mov_b64 exec, s[36:37]                                   // 00000000A310: BEFE0124
	v_mov_b32_e32 v6, v85                                      // 00000000A314: 7E0C0355
	s_mov_b64 s[60:61], 0                                      // 00000000A318: BEBC0180
	v_readlane_b32 s82, v3, 34                                 // 00000000A31C: D2890052 00014503
	s_and_b32 s82, s82, 0xffffff                               // 00000000A324: 8652FF52 00FFFFFF
	s_cmp_lt_u32 s82, s66                                      // 00000000A32C: BF0A4252
	s_cselect_b32 s20, s36, s60                                // 00000000A330: 85143C24
	v_readlane_b32 s82, v3, 35                                 // 00000000A334: D2890052 00014703
	s_and_b32 s82, s82, 0xffffff                               // 00000000A33C: 8652FF52 00FFFFFF
	s_cmp_lt_u32 s82, s66                                      // 00000000A344: BF0A4252
	s_cselect_b32 s21, s36, s60                                // 00000000A348: 85153C24
	s_mov_b64 exec, s[20:21]                                   // 00000000A34C: BEFE0114
	global_atomic_add_f32 v6, v159, s[8:9] offset:8            // 00000000A350: DD348008 00089F06
	global_atomic_add_f32 v6, v163, s[8:9] offset:264          // 00000000A358: DD348108 0008A306
	s_mov_b64 exec, s[36:37]                                   // 00000000A360: BEFE0124
	v_mov_b32_e32 v6, v86                                      // 00000000A364: 7E0C0356
	s_mov_b64 s[60:61], 0                                      // 00000000A368: BEBC0180
	v_readlane_b32 s82, v3, 36                                 // 00000000A36C: D2890052 00014903
	s_and_b32 s82, s82, 0xffffff                               // 00000000A374: 8652FF52 00FFFFFF
	s_cmp_lt_u32 s82, s66                                      // 00000000A37C: BF0A4252
	s_cselect_b32 s20, s36, s60                                // 00000000A380: 85143C24
	v_readlane_b32 s82, v3, 37                                 // 00000000A384: D2890052 00014B03
	s_and_b32 s82, s82, 0xffffff                               // 00000000A38C: 8652FF52 00FFFFFF
	s_cmp_lt_u32 s82, s66                                      // 00000000A394: BF0A4252
	s_cselect_b32 s21, s36, s60                                // 00000000A398: 85153C24
	s_mov_b64 exec, s[20:21]                                   // 00000000A39C: BEFE0114
	global_atomic_add_f32 v6, v166, s[8:9] offset:8            // 00000000A3A0: DD348008 0008A606
	global_atomic_add_f32 v6, v170, s[8:9] offset:264          // 00000000A3A8: DD348108 0008AA06
	s_mov_b64 exec, s[36:37]                                   // 00000000A3B0: BEFE0124
	v_mov_b32_e32 v6, v87                                      // 00000000A3B4: 7E0C0357
	s_mov_b64 s[60:61], 0                                      // 00000000A3B8: BEBC0180
	v_readlane_b32 s82, v3, 38                                 // 00000000A3BC: D2890052 00014D03
	s_and_b32 s82, s82, 0xffffff                               // 00000000A3C4: 8652FF52 00FFFFFF
	s_cmp_lt_u32 s82, s66                                      // 00000000A3CC: BF0A4252
	s_cselect_b32 s20, s36, s60                                // 00000000A3D0: 85143C24
	v_readlane_b32 s82, v3, 39                                 // 00000000A3D4: D2890052 00014F03
	s_and_b32 s82, s82, 0xffffff                               // 00000000A3DC: 8652FF52 00FFFFFF
	s_cmp_lt_u32 s82, s66                                      // 00000000A3E4: BF0A4252
	s_cselect_b32 s21, s36, s60                                // 00000000A3E8: 85153C24
	s_mov_b64 exec, s[20:21]                                   // 00000000A3EC: BEFE0114
	global_atomic_add_f32 v6, v167, s[8:9] offset:8            // 00000000A3F0: DD348008 0008A706
	global_atomic_add_f32 v6, v171, s[8:9] offset:264          // 00000000A3F8: DD348108 0008AB06
	s_mov_b64 exec, s[36:37]                                   // 00000000A400: BEFE0124
	ds_write_b64 v20, v[172:173]                               // 00000000A404: D89A0000 0000AC14
	ds_write_b64 v20, v[176:177] offset:4352                   // 00000000A40C: D89A1100 0000B014
	ds_write_b64 v20, v[180:181] offset:8704                   // 00000000A414: D89A2200 0000B414
	ds_write_b64 v20, v[184:185] offset:13056                  // 00000000A41C: D89A3300 0000B814
	ds_write_b64 v20, v[188:189] offset:17408                  // 00000000A424: D89A4400 0000BC14
	ds_write_b64 v20, v[192:193] offset:21760                  // 00000000A42C: D89A5500 0000C014
	ds_write_b64 v20, v[196:197] offset:26112                  // 00000000A434: D89A6600 0000C414
	ds_write_b64 v20, v[200:201] offset:30464                  // 00000000A43C: D89A7700 0000C814
	ds_write_b64 v20, v[204:205] offset:34816                  // 00000000A444: D89A8800 0000CC14
	ds_write_b64 v20, v[208:209] offset:39168                  // 00000000A44C: D89A9900 0000D014
	ds_write_b64 v20, v[212:213] offset:2176                   // 00000000A454: D89A0880 0000D414
	ds_write_b64 v20, v[216:217] offset:6528                   // 00000000A45C: D89A1980 0000D814
	ds_write_b64 v20, v[220:221] offset:10880                  // 00000000A464: D89A2A80 0000DC14
	ds_write_b64 v20, v[224:225] offset:15232                  // 00000000A46C: D89A3B80 0000E014
	ds_write_b64 v20, v[228:229] offset:19584                  // 00000000A474: D89A4C80 0000E414
	ds_write_b64 v20, v[232:233] offset:23936                  // 00000000A47C: D89A5D80 0000E814
	ds_write_b64 v20, v[236:237] offset:28288                  // 00000000A484: D89A6E80 0000EC14
	ds_write_b64 v20, v[240:241] offset:32640                  // 00000000A48C: D89A7F80 0000F014
	ds_write_b64 v20, v[244:245] offset:36992                  // 00000000A494: D89A9080 0000F414
	ds_write_b64 v20, v[248:249] offset:41344                  // 00000000A49C: D89AA180 0000F814
	s_waitcnt lgkmcnt(0)                                       // 00000000A4A4: BF8CC07F
	s_barrier                                                  // 00000000A4A8: BF8A0000
	ds_read_b32 v172, v21                                      // 00000000A4AC: D86C0000 AC000015
	ds_read_b32 v173, v21 offset:64                            // 00000000A4B4: D86C0040 AD000015
	ds_read_b32 v176, v21 offset:2176                          // 00000000A4BC: D86C0880 B0000015
	ds_read_b32 v177, v21 offset:2240                          // 00000000A4C4: D86C08C0 B1000015
	ds_read_b32 v180, v21 offset:4352                          // 00000000A4CC: D86C1100 B4000015
	ds_read_b32 v181, v21 offset:4416                          // 00000000A4D4: D86C1140 B5000015
	ds_read_b32 v184, v21 offset:6528                          // 00000000A4DC: D86C1980 B8000015
	ds_read_b32 v185, v21 offset:6592                          // 00000000A4E4: D86C19C0 B9000015
	ds_read_b32 v188, v21 offset:8704                          // 00000000A4EC: D86C2200 BC000015
	ds_read_b32 v189, v21 offset:8768                          // 00000000A4F4: D86C2240 BD000015
	ds_read_b32 v192, v21 offset:10880                         // 00000000A4FC: D86C2A80 C0000015
	ds_read_b32 v193, v21 offset:10944                         // 00000000A504: D86C2AC0 C1000015
	ds_read_b32 v196, v21 offset:13056                         // 00000000A50C: D86C3300 C4000015
	ds_read_b32 v197, v21 offset:13120                         // 00000000A514: D86C3340 C5000015
	ds_read_b32 v200, v21 offset:15232                         // 00000000A51C: D86C3B80 C8000015
	ds_read_b32 v201, v21 offset:15296                         // 00000000A524: D86C3BC0 C9000015
	ds_read_b32 v204, v21 offset:17408                         // 00000000A52C: D86C4400 CC000015
	ds_read_b32 v205, v21 offset:17472                         // 00000000A534: D86C4440 CD000015
	ds_read_b32 v208, v21 offset:19584                         // 00000000A53C: D86C4C80 D0000015
	ds_read_b32 v209, v21 offset:19648                         // 00000000A544: D86C4CC0 D1000015
	ds_read_b32 v212, v21 offset:21760                         // 00000000A54C: D86C5500 D4000015
	ds_read_b32 v213, v21 offset:21824                         // 00000000A554: D86C5540 D5000015
	ds_read_b32 v216, v21 offset:23936                         // 00000000A55C: D86C5D80 D8000015
	ds_read_b32 v217, v21 offset:24000                         // 00000000A564: D86C5DC0 D9000015
	ds_read_b32 v220, v21 offset:26112                         // 00000000A56C: D86C6600 DC000015
	ds_read_b32 v221, v21 offset:26176                         // 00000000A574: D86C6640 DD000015
	ds_read_b32 v224, v21 offset:28288                         // 00000000A57C: D86C6E80 E0000015
	ds_read_b32 v225, v21 offset:28352                         // 00000000A584: D86C6EC0 E1000015
	ds_read_b32 v228, v21 offset:30464                         // 00000000A58C: D86C7700 E4000015
	ds_read_b32 v229, v21 offset:30528                         // 00000000A594: D86C7740 E5000015
	ds_read_b32 v232, v21 offset:32640                         // 00000000A59C: D86C7F80 E8000015
	ds_read_b32 v233, v21 offset:32704                         // 00000000A5A4: D86C7FC0 E9000015
	ds_read_b32 v236, v21 offset:34816                         // 00000000A5AC: D86C8800 EC000015
	ds_read_b32 v237, v21 offset:34880                         // 00000000A5B4: D86C8840 ED000015
	ds_read_b32 v240, v21 offset:36992                         // 00000000A5BC: D86C9080 F0000015
	ds_read_b32 v241, v21 offset:37056                         // 00000000A5C4: D86C90C0 F1000015
	ds_read_b32 v244, v21 offset:39168                         // 00000000A5CC: D86C9900 F4000015
	ds_read_b32 v245, v21 offset:39232                         // 00000000A5D4: D86C9940 F5000015
	ds_read_b32 v248, v21 offset:41344                         // 00000000A5DC: D86CA180 F8000015
	ds_read_b32 v249, v21 offset:41408                         // 00000000A5E4: D86CA1C0 F9000015
	s_mul_i32 s60, s65, 4                                      // 00000000A5EC: 923C8441
	s_add_u32 s8, s60, s8                                      // 00000000A5F0: 8008083C
	s_addc_u32 s9, 0, s9                                       // 00000000A5F4: 82090980
	s_waitcnt lgkmcnt(0)                                       // 00000000A5F8: BF8CC07F
	v_mov_b32_e32 v7, 0                                        // 00000000A5FC: 7E0E0280
	s_mov_b64 exec, s[36:37]                                   // 00000000A600: BEFE0124
	v_mov_b32_e32 v6, v68                                      // 00000000A604: 7E0C0344
	s_mov_b64 s[60:61], 0                                      // 00000000A608: BEBC0180
	v_readlane_b32 s82, v3, 0                                  // 00000000A60C: D2890052 00010103
	s_and_b32 s82, s82, 0xffffff                               // 00000000A614: 8652FF52 00FFFFFF
	s_cmp_lt_u32 s82, s66                                      // 00000000A61C: BF0A4252
	s_cselect_b32 s20, s36, s60                                // 00000000A620: 85143C24
	v_readlane_b32 s82, v3, 1                                  // 00000000A624: D2890052 00010303
	s_and_b32 s82, s82, 0xffffff                               // 00000000A62C: 8652FF52 00FFFFFF
	s_cmp_lt_u32 s82, s66                                      // 00000000A634: BF0A4252
	s_cselect_b32 s21, s36, s60                                // 00000000A638: 85153C24
	s_mov_b64 exec, s[20:21]                                   // 00000000A63C: BEFE0114
	global_atomic_add_f32 v6, v172, s[8:9]                     // 00000000A640: DD348000 0008AC06
	global_atomic_add_f32 v6, v176, s[8:9] offset:256          // 00000000A648: DD348100 0008B006
	s_mov_b64 exec, s[36:37]                                   // 00000000A650: BEFE0124
	v_mov_b32_e32 v6, v69                                      // 00000000A654: 7E0C0345
	s_mov_b64 s[60:61], 0                                      // 00000000A658: BEBC0180
	v_readlane_b32 s82, v3, 2                                  // 00000000A65C: D2890052 00010503
	s_and_b32 s82, s82, 0xffffff                               // 00000000A664: 8652FF52 00FFFFFF
	s_cmp_lt_u32 s82, s66                                      // 00000000A66C: BF0A4252
	s_cselect_b32 s20, s36, s60                                // 00000000A670: 85143C24
	v_readlane_b32 s82, v3, 3                                  // 00000000A674: D2890052 00010703
	s_and_b32 s82, s82, 0xffffff                               // 00000000A67C: 8652FF52 00FFFFFF
	s_cmp_lt_u32 s82, s66                                      // 00000000A684: BF0A4252
	s_cselect_b32 s21, s36, s60                                // 00000000A688: 85153C24
	s_mov_b64 exec, s[20:21]                                   // 00000000A68C: BEFE0114
	global_atomic_add_f32 v6, v173, s[8:9]                     // 00000000A690: DD348000 0008AD06
	global_atomic_add_f32 v6, v177, s[8:9] offset:256          // 00000000A698: DD348100 0008B106
	s_mov_b64 exec, s[36:37]                                   // 00000000A6A0: BEFE0124
	v_mov_b32_e32 v6, v70                                      // 00000000A6A4: 7E0C0346
	s_mov_b64 s[60:61], 0                                      // 00000000A6A8: BEBC0180
	v_readlane_b32 s82, v3, 4                                  // 00000000A6AC: D2890052 00010903
	s_and_b32 s82, s82, 0xffffff                               // 00000000A6B4: 8652FF52 00FFFFFF
	s_cmp_lt_u32 s82, s66                                      // 00000000A6BC: BF0A4252
	s_cselect_b32 s20, s36, s60                                // 00000000A6C0: 85143C24
	v_readlane_b32 s82, v3, 5                                  // 00000000A6C4: D2890052 00010B03
	s_and_b32 s82, s82, 0xffffff                               // 00000000A6CC: 8652FF52 00FFFFFF
	s_cmp_lt_u32 s82, s66                                      // 00000000A6D4: BF0A4252
	s_cselect_b32 s21, s36, s60                                // 00000000A6D8: 85153C24
	s_mov_b64 exec, s[20:21]                                   // 00000000A6DC: BEFE0114
	global_atomic_add_f32 v6, v180, s[8:9]                     // 00000000A6E0: DD348000 0008B406
	global_atomic_add_f32 v6, v184, s[8:9] offset:256          // 00000000A6E8: DD348100 0008B806
	s_mov_b64 exec, s[36:37]                                   // 00000000A6F0: BEFE0124
	v_mov_b32_e32 v6, v71                                      // 00000000A6F4: 7E0C0347
	s_mov_b64 s[60:61], 0                                      // 00000000A6F8: BEBC0180
	v_readlane_b32 s82, v3, 6                                  // 00000000A6FC: D2890052 00010D03
	s_and_b32 s82, s82, 0xffffff                               // 00000000A704: 8652FF52 00FFFFFF
	s_cmp_lt_u32 s82, s66                                      // 00000000A70C: BF0A4252
	s_cselect_b32 s20, s36, s60                                // 00000000A710: 85143C24
	v_readlane_b32 s82, v3, 7                                  // 00000000A714: D2890052 00010F03
	s_and_b32 s82, s82, 0xffffff                               // 00000000A71C: 8652FF52 00FFFFFF
	s_cmp_lt_u32 s82, s66                                      // 00000000A724: BF0A4252
	s_cselect_b32 s21, s36, s60                                // 00000000A728: 85153C24
	s_mov_b64 exec, s[20:21]                                   // 00000000A72C: BEFE0114
	global_atomic_add_f32 v6, v181, s[8:9]                     // 00000000A730: DD348000 0008B506
	global_atomic_add_f32 v6, v185, s[8:9] offset:256          // 00000000A738: DD348100 0008B906
	s_mov_b64 exec, s[36:37]                                   // 00000000A740: BEFE0124
	v_mov_b32_e32 v6, v72                                      // 00000000A744: 7E0C0348
	s_mov_b64 s[60:61], 0                                      // 00000000A748: BEBC0180
	v_readlane_b32 s82, v3, 8                                  // 00000000A74C: D2890052 00011103
	s_and_b32 s82, s82, 0xffffff                               // 00000000A754: 8652FF52 00FFFFFF
	s_cmp_lt_u32 s82, s66                                      // 00000000A75C: BF0A4252
	s_cselect_b32 s20, s36, s60                                // 00000000A760: 85143C24
	v_readlane_b32 s82, v3, 9                                  // 00000000A764: D2890052 00011303
	s_and_b32 s82, s82, 0xffffff                               // 00000000A76C: 8652FF52 00FFFFFF
	s_cmp_lt_u32 s82, s66                                      // 00000000A774: BF0A4252
	s_cselect_b32 s21, s36, s60                                // 00000000A778: 85153C24
	s_mov_b64 exec, s[20:21]                                   // 00000000A77C: BEFE0114
	global_atomic_add_f32 v6, v188, s[8:9]                     // 00000000A780: DD348000 0008BC06
	global_atomic_add_f32 v6, v192, s[8:9] offset:256          // 00000000A788: DD348100 0008C006
	s_mov_b64 exec, s[36:37]                                   // 00000000A790: BEFE0124
	v_mov_b32_e32 v6, v73                                      // 00000000A794: 7E0C0349
	s_mov_b64 s[60:61], 0                                      // 00000000A798: BEBC0180
	v_readlane_b32 s82, v3, 10                                 // 00000000A79C: D2890052 00011503
	s_and_b32 s82, s82, 0xffffff                               // 00000000A7A4: 8652FF52 00FFFFFF
	s_cmp_lt_u32 s82, s66                                      // 00000000A7AC: BF0A4252
	s_cselect_b32 s20, s36, s60                                // 00000000A7B0: 85143C24
	v_readlane_b32 s82, v3, 11                                 // 00000000A7B4: D2890052 00011703
	s_and_b32 s82, s82, 0xffffff                               // 00000000A7BC: 8652FF52 00FFFFFF
	s_cmp_lt_u32 s82, s66                                      // 00000000A7C4: BF0A4252
	s_cselect_b32 s21, s36, s60                                // 00000000A7C8: 85153C24
	s_mov_b64 exec, s[20:21]                                   // 00000000A7CC: BEFE0114
	global_atomic_add_f32 v6, v189, s[8:9]                     // 00000000A7D0: DD348000 0008BD06
	global_atomic_add_f32 v6, v193, s[8:9] offset:256          // 00000000A7D8: DD348100 0008C106
	s_mov_b64 exec, s[36:37]                                   // 00000000A7E0: BEFE0124
	v_mov_b32_e32 v6, v74                                      // 00000000A7E4: 7E0C034A
	s_mov_b64 s[60:61], 0                                      // 00000000A7E8: BEBC0180
	v_readlane_b32 s82, v3, 12                                 // 00000000A7EC: D2890052 00011903
	s_and_b32 s82, s82, 0xffffff                               // 00000000A7F4: 8652FF52 00FFFFFF
	s_cmp_lt_u32 s82, s66                                      // 00000000A7FC: BF0A4252
	s_cselect_b32 s20, s36, s60                                // 00000000A800: 85143C24
	v_readlane_b32 s82, v3, 13                                 // 00000000A804: D2890052 00011B03
	s_and_b32 s82, s82, 0xffffff                               // 00000000A80C: 8652FF52 00FFFFFF
	s_cmp_lt_u32 s82, s66                                      // 00000000A814: BF0A4252
	s_cselect_b32 s21, s36, s60                                // 00000000A818: 85153C24
	s_mov_b64 exec, s[20:21]                                   // 00000000A81C: BEFE0114
	global_atomic_add_f32 v6, v196, s[8:9]                     // 00000000A820: DD348000 0008C406
	global_atomic_add_f32 v6, v200, s[8:9] offset:256          // 00000000A828: DD348100 0008C806
	s_mov_b64 exec, s[36:37]                                   // 00000000A830: BEFE0124
	v_mov_b32_e32 v6, v75                                      // 00000000A834: 7E0C034B
	s_mov_b64 s[60:61], 0                                      // 00000000A838: BEBC0180
	v_readlane_b32 s82, v3, 14                                 // 00000000A83C: D2890052 00011D03
	s_and_b32 s82, s82, 0xffffff                               // 00000000A844: 8652FF52 00FFFFFF
	s_cmp_lt_u32 s82, s66                                      // 00000000A84C: BF0A4252
	s_cselect_b32 s20, s36, s60                                // 00000000A850: 85143C24
	v_readlane_b32 s82, v3, 15                                 // 00000000A854: D2890052 00011F03
	s_and_b32 s82, s82, 0xffffff                               // 00000000A85C: 8652FF52 00FFFFFF
	s_cmp_lt_u32 s82, s66                                      // 00000000A864: BF0A4252
	s_cselect_b32 s21, s36, s60                                // 00000000A868: 85153C24
	s_mov_b64 exec, s[20:21]                                   // 00000000A86C: BEFE0114
	global_atomic_add_f32 v6, v197, s[8:9]                     // 00000000A870: DD348000 0008C506
	global_atomic_add_f32 v6, v201, s[8:9] offset:256          // 00000000A878: DD348100 0008C906
	s_mov_b64 exec, s[36:37]                                   // 00000000A880: BEFE0124
	v_mov_b32_e32 v6, v76                                      // 00000000A884: 7E0C034C
	s_mov_b64 s[60:61], 0                                      // 00000000A888: BEBC0180
	v_readlane_b32 s82, v3, 16                                 // 00000000A88C: D2890052 00012103
	s_and_b32 s82, s82, 0xffffff                               // 00000000A894: 8652FF52 00FFFFFF
	s_cmp_lt_u32 s82, s66                                      // 00000000A89C: BF0A4252
	s_cselect_b32 s20, s36, s60                                // 00000000A8A0: 85143C24
	v_readlane_b32 s82, v3, 17                                 // 00000000A8A4: D2890052 00012303
	s_and_b32 s82, s82, 0xffffff                               // 00000000A8AC: 8652FF52 00FFFFFF
	s_cmp_lt_u32 s82, s66                                      // 00000000A8B4: BF0A4252
	s_cselect_b32 s21, s36, s60                                // 00000000A8B8: 85153C24
	s_mov_b64 exec, s[20:21]                                   // 00000000A8BC: BEFE0114
	global_atomic_add_f32 v6, v204, s[8:9]                     // 00000000A8C0: DD348000 0008CC06
	global_atomic_add_f32 v6, v208, s[8:9] offset:256          // 00000000A8C8: DD348100 0008D006
	s_mov_b64 exec, s[36:37]                                   // 00000000A8D0: BEFE0124
	v_mov_b32_e32 v6, v77                                      // 00000000A8D4: 7E0C034D
	s_mov_b64 s[60:61], 0                                      // 00000000A8D8: BEBC0180
	v_readlane_b32 s82, v3, 18                                 // 00000000A8DC: D2890052 00012503
	s_and_b32 s82, s82, 0xffffff                               // 00000000A8E4: 8652FF52 00FFFFFF
	s_cmp_lt_u32 s82, s66                                      // 00000000A8EC: BF0A4252
	s_cselect_b32 s20, s36, s60                                // 00000000A8F0: 85143C24
	v_readlane_b32 s82, v3, 19                                 // 00000000A8F4: D2890052 00012703
	s_and_b32 s82, s82, 0xffffff                               // 00000000A8FC: 8652FF52 00FFFFFF
	s_cmp_lt_u32 s82, s66                                      // 00000000A904: BF0A4252
	s_cselect_b32 s21, s36, s60                                // 00000000A908: 85153C24
	s_mov_b64 exec, s[20:21]                                   // 00000000A90C: BEFE0114
	global_atomic_add_f32 v6, v205, s[8:9]                     // 00000000A910: DD348000 0008CD06
	global_atomic_add_f32 v6, v209, s[8:9] offset:256          // 00000000A918: DD348100 0008D106
	s_mov_b64 exec, s[36:37]                                   // 00000000A920: BEFE0124
	v_mov_b32_e32 v6, v78                                      // 00000000A924: 7E0C034E
	s_mov_b64 s[60:61], 0                                      // 00000000A928: BEBC0180
	v_readlane_b32 s82, v3, 20                                 // 00000000A92C: D2890052 00012903
	s_and_b32 s82, s82, 0xffffff                               // 00000000A934: 8652FF52 00FFFFFF
	s_cmp_lt_u32 s82, s66                                      // 00000000A93C: BF0A4252
	s_cselect_b32 s20, s36, s60                                // 00000000A940: 85143C24
	v_readlane_b32 s82, v3, 21                                 // 00000000A944: D2890052 00012B03
	s_and_b32 s82, s82, 0xffffff                               // 00000000A94C: 8652FF52 00FFFFFF
	s_cmp_lt_u32 s82, s66                                      // 00000000A954: BF0A4252
	s_cselect_b32 s21, s36, s60                                // 00000000A958: 85153C24
	s_mov_b64 exec, s[20:21]                                   // 00000000A95C: BEFE0114
	global_atomic_add_f32 v6, v212, s[8:9]                     // 00000000A960: DD348000 0008D406
	global_atomic_add_f32 v6, v216, s[8:9] offset:256          // 00000000A968: DD348100 0008D806
	s_mov_b64 exec, s[36:37]                                   // 00000000A970: BEFE0124
	v_mov_b32_e32 v6, v79                                      // 00000000A974: 7E0C034F
	s_mov_b64 s[60:61], 0                                      // 00000000A978: BEBC0180
	v_readlane_b32 s82, v3, 22                                 // 00000000A97C: D2890052 00012D03
	s_and_b32 s82, s82, 0xffffff                               // 00000000A984: 8652FF52 00FFFFFF
	s_cmp_lt_u32 s82, s66                                      // 00000000A98C: BF0A4252
	s_cselect_b32 s20, s36, s60                                // 00000000A990: 85143C24
	v_readlane_b32 s82, v3, 23                                 // 00000000A994: D2890052 00012F03
	s_and_b32 s82, s82, 0xffffff                               // 00000000A99C: 8652FF52 00FFFFFF
	s_cmp_lt_u32 s82, s66                                      // 00000000A9A4: BF0A4252
	s_cselect_b32 s21, s36, s60                                // 00000000A9A8: 85153C24
	s_mov_b64 exec, s[20:21]                                   // 00000000A9AC: BEFE0114
	global_atomic_add_f32 v6, v213, s[8:9]                     // 00000000A9B0: DD348000 0008D506
	global_atomic_add_f32 v6, v217, s[8:9] offset:256          // 00000000A9B8: DD348100 0008D906
	s_mov_b64 exec, s[36:37]                                   // 00000000A9C0: BEFE0124
	v_mov_b32_e32 v6, v80                                      // 00000000A9C4: 7E0C0350
	s_mov_b64 s[60:61], 0                                      // 00000000A9C8: BEBC0180
	v_readlane_b32 s82, v3, 24                                 // 00000000A9CC: D2890052 00013103
	s_and_b32 s82, s82, 0xffffff                               // 00000000A9D4: 8652FF52 00FFFFFF
	s_cmp_lt_u32 s82, s66                                      // 00000000A9DC: BF0A4252
	s_cselect_b32 s20, s36, s60                                // 00000000A9E0: 85143C24
	v_readlane_b32 s82, v3, 25                                 // 00000000A9E4: D2890052 00013303
	s_and_b32 s82, s82, 0xffffff                               // 00000000A9EC: 8652FF52 00FFFFFF
	s_cmp_lt_u32 s82, s66                                      // 00000000A9F4: BF0A4252
	s_cselect_b32 s21, s36, s60                                // 00000000A9F8: 85153C24
	s_mov_b64 exec, s[20:21]                                   // 00000000A9FC: BEFE0114
	global_atomic_add_f32 v6, v220, s[8:9]                     // 00000000AA00: DD348000 0008DC06
	global_atomic_add_f32 v6, v224, s[8:9] offset:256          // 00000000AA08: DD348100 0008E006
	s_mov_b64 exec, s[36:37]                                   // 00000000AA10: BEFE0124
	v_mov_b32_e32 v6, v81                                      // 00000000AA14: 7E0C0351
	s_mov_b64 s[60:61], 0                                      // 00000000AA18: BEBC0180
	v_readlane_b32 s82, v3, 26                                 // 00000000AA1C: D2890052 00013503
	s_and_b32 s82, s82, 0xffffff                               // 00000000AA24: 8652FF52 00FFFFFF
	s_cmp_lt_u32 s82, s66                                      // 00000000AA2C: BF0A4252
	s_cselect_b32 s20, s36, s60                                // 00000000AA30: 85143C24
	v_readlane_b32 s82, v3, 27                                 // 00000000AA34: D2890052 00013703
	s_and_b32 s82, s82, 0xffffff                               // 00000000AA3C: 8652FF52 00FFFFFF
	s_cmp_lt_u32 s82, s66                                      // 00000000AA44: BF0A4252
	s_cselect_b32 s21, s36, s60                                // 00000000AA48: 85153C24
	s_mov_b64 exec, s[20:21]                                   // 00000000AA4C: BEFE0114
	global_atomic_add_f32 v6, v221, s[8:9]                     // 00000000AA50: DD348000 0008DD06
	global_atomic_add_f32 v6, v225, s[8:9] offset:256          // 00000000AA58: DD348100 0008E106
	s_mov_b64 exec, s[36:37]                                   // 00000000AA60: BEFE0124
	v_mov_b32_e32 v6, v82                                      // 00000000AA64: 7E0C0352
	s_mov_b64 s[60:61], 0                                      // 00000000AA68: BEBC0180
	v_readlane_b32 s82, v3, 28                                 // 00000000AA6C: D2890052 00013903
	s_and_b32 s82, s82, 0xffffff                               // 00000000AA74: 8652FF52 00FFFFFF
	s_cmp_lt_u32 s82, s66                                      // 00000000AA7C: BF0A4252
	s_cselect_b32 s20, s36, s60                                // 00000000AA80: 85143C24
	v_readlane_b32 s82, v3, 29                                 // 00000000AA84: D2890052 00013B03
	s_and_b32 s82, s82, 0xffffff                               // 00000000AA8C: 8652FF52 00FFFFFF
	s_cmp_lt_u32 s82, s66                                      // 00000000AA94: BF0A4252
	s_cselect_b32 s21, s36, s60                                // 00000000AA98: 85153C24
	s_mov_b64 exec, s[20:21]                                   // 00000000AA9C: BEFE0114
	global_atomic_add_f32 v6, v228, s[8:9]                     // 00000000AAA0: DD348000 0008E406
	global_atomic_add_f32 v6, v232, s[8:9] offset:256          // 00000000AAA8: DD348100 0008E806
	s_mov_b64 exec, s[36:37]                                   // 00000000AAB0: BEFE0124
	v_mov_b32_e32 v6, v83                                      // 00000000AAB4: 7E0C0353
	s_mov_b64 s[60:61], 0                                      // 00000000AAB8: BEBC0180
	v_readlane_b32 s82, v3, 30                                 // 00000000AABC: D2890052 00013D03
	s_and_b32 s82, s82, 0xffffff                               // 00000000AAC4: 8652FF52 00FFFFFF
	s_cmp_lt_u32 s82, s66                                      // 00000000AACC: BF0A4252
	s_cselect_b32 s20, s36, s60                                // 00000000AAD0: 85143C24
	v_readlane_b32 s82, v3, 31                                 // 00000000AAD4: D2890052 00013F03
	s_and_b32 s82, s82, 0xffffff                               // 00000000AADC: 8652FF52 00FFFFFF
	s_cmp_lt_u32 s82, s66                                      // 00000000AAE4: BF0A4252
	s_cselect_b32 s21, s36, s60                                // 00000000AAE8: 85153C24
	s_mov_b64 exec, s[20:21]                                   // 00000000AAEC: BEFE0114
	global_atomic_add_f32 v6, v229, s[8:9]                     // 00000000AAF0: DD348000 0008E506
	global_atomic_add_f32 v6, v233, s[8:9] offset:256          // 00000000AAF8: DD348100 0008E906
	s_mov_b64 exec, s[36:37]                                   // 00000000AB00: BEFE0124
	v_mov_b32_e32 v6, v84                                      // 00000000AB04: 7E0C0354
	s_mov_b64 s[60:61], 0                                      // 00000000AB08: BEBC0180
	v_readlane_b32 s82, v3, 32                                 // 00000000AB0C: D2890052 00014103
	s_and_b32 s82, s82, 0xffffff                               // 00000000AB14: 8652FF52 00FFFFFF
	s_cmp_lt_u32 s82, s66                                      // 00000000AB1C: BF0A4252
	s_cselect_b32 s20, s36, s60                                // 00000000AB20: 85143C24
	v_readlane_b32 s82, v3, 33                                 // 00000000AB24: D2890052 00014303
	s_and_b32 s82, s82, 0xffffff                               // 00000000AB2C: 8652FF52 00FFFFFF
	s_cmp_lt_u32 s82, s66                                      // 00000000AB34: BF0A4252
	s_cselect_b32 s21, s36, s60                                // 00000000AB38: 85153C24
	s_mov_b64 exec, s[20:21]                                   // 00000000AB3C: BEFE0114
	global_atomic_add_f32 v6, v236, s[8:9]                     // 00000000AB40: DD348000 0008EC06
	global_atomic_add_f32 v6, v240, s[8:9] offset:256          // 00000000AB48: DD348100 0008F006
	s_mov_b64 exec, s[36:37]                                   // 00000000AB50: BEFE0124
	v_mov_b32_e32 v6, v85                                      // 00000000AB54: 7E0C0355
	s_mov_b64 s[60:61], 0                                      // 00000000AB58: BEBC0180
	v_readlane_b32 s82, v3, 34                                 // 00000000AB5C: D2890052 00014503
	s_and_b32 s82, s82, 0xffffff                               // 00000000AB64: 8652FF52 00FFFFFF
	s_cmp_lt_u32 s82, s66                                      // 00000000AB6C: BF0A4252
	s_cselect_b32 s20, s36, s60                                // 00000000AB70: 85143C24
	v_readlane_b32 s82, v3, 35                                 // 00000000AB74: D2890052 00014703
	s_and_b32 s82, s82, 0xffffff                               // 00000000AB7C: 8652FF52 00FFFFFF
	s_cmp_lt_u32 s82, s66                                      // 00000000AB84: BF0A4252
	s_cselect_b32 s21, s36, s60                                // 00000000AB88: 85153C24
	s_mov_b64 exec, s[20:21]                                   // 00000000AB8C: BEFE0114
	global_atomic_add_f32 v6, v237, s[8:9]                     // 00000000AB90: DD348000 0008ED06
	global_atomic_add_f32 v6, v241, s[8:9] offset:256          // 00000000AB98: DD348100 0008F106
	s_mov_b64 exec, s[36:37]                                   // 00000000ABA0: BEFE0124
	v_mov_b32_e32 v6, v86                                      // 00000000ABA4: 7E0C0356
	s_mov_b64 s[60:61], 0                                      // 00000000ABA8: BEBC0180
	v_readlane_b32 s82, v3, 36                                 // 00000000ABAC: D2890052 00014903
	s_and_b32 s82, s82, 0xffffff                               // 00000000ABB4: 8652FF52 00FFFFFF
	s_cmp_lt_u32 s82, s66                                      // 00000000ABBC: BF0A4252
	s_cselect_b32 s20, s36, s60                                // 00000000ABC0: 85143C24
	v_readlane_b32 s82, v3, 37                                 // 00000000ABC4: D2890052 00014B03
	s_and_b32 s82, s82, 0xffffff                               // 00000000ABCC: 8652FF52 00FFFFFF
	s_cmp_lt_u32 s82, s66                                      // 00000000ABD4: BF0A4252
	s_cselect_b32 s21, s36, s60                                // 00000000ABD8: 85153C24
	s_mov_b64 exec, s[20:21]                                   // 00000000ABDC: BEFE0114
	global_atomic_add_f32 v6, v244, s[8:9]                     // 00000000ABE0: DD348000 0008F406
	global_atomic_add_f32 v6, v248, s[8:9] offset:256          // 00000000ABE8: DD348100 0008F806
	s_mov_b64 exec, s[36:37]                                   // 00000000ABF0: BEFE0124
	v_mov_b32_e32 v6, v87                                      // 00000000ABF4: 7E0C0357
	s_mov_b64 s[60:61], 0                                      // 00000000ABF8: BEBC0180
	v_readlane_b32 s82, v3, 38                                 // 00000000ABFC: D2890052 00014D03
	s_and_b32 s82, s82, 0xffffff                               // 00000000AC04: 8652FF52 00FFFFFF
	s_cmp_lt_u32 s82, s66                                      // 00000000AC0C: BF0A4252
	s_cselect_b32 s20, s36, s60                                // 00000000AC10: 85143C24
	v_readlane_b32 s82, v3, 39                                 // 00000000AC14: D2890052 00014F03
	s_and_b32 s82, s82, 0xffffff                               // 00000000AC1C: 8652FF52 00FFFFFF
	s_cmp_lt_u32 s82, s66                                      // 00000000AC24: BF0A4252
	s_cselect_b32 s21, s36, s60                                // 00000000AC28: 85153C24
	s_mov_b64 exec, s[20:21]                                   // 00000000AC2C: BEFE0114
	global_atomic_add_f32 v6, v245, s[8:9]                     // 00000000AC30: DD348000 0008F506
	global_atomic_add_f32 v6, v249, s[8:9] offset:256          // 00000000AC38: DD348100 0008F906
	s_mov_b64 exec, s[36:37]                                   // 00000000AC40: BEFE0124
	ds_write_b64 v20, v[174:175]                               // 00000000AC44: D89A0000 0000AE14
	ds_write_b64 v20, v[178:179] offset:4352                   // 00000000AC4C: D89A1100 0000B214
	ds_write_b64 v20, v[182:183] offset:8704                   // 00000000AC54: D89A2200 0000B614
	ds_write_b64 v20, v[186:187] offset:13056                  // 00000000AC5C: D89A3300 0000BA14
	ds_write_b64 v20, v[190:191] offset:17408                  // 00000000AC64: D89A4400 0000BE14
	ds_write_b64 v20, v[194:195] offset:21760                  // 00000000AC6C: D89A5500 0000C214
	ds_write_b64 v20, v[198:199] offset:26112                  // 00000000AC74: D89A6600 0000C614
	ds_write_b64 v20, v[202:203] offset:30464                  // 00000000AC7C: D89A7700 0000CA14
	ds_write_b64 v20, v[206:207] offset:34816                  // 00000000AC84: D89A8800 0000CE14
	ds_write_b64 v20, v[210:211] offset:39168                  // 00000000AC8C: D89A9900 0000D214
	ds_write_b64 v20, v[214:215] offset:2176                   // 00000000AC94: D89A0880 0000D614
	ds_write_b64 v20, v[218:219] offset:6528                   // 00000000AC9C: D89A1980 0000DA14
	ds_write_b64 v20, v[222:223] offset:10880                  // 00000000ACA4: D89A2A80 0000DE14
	ds_write_b64 v20, v[226:227] offset:15232                  // 00000000ACAC: D89A3B80 0000E214
	ds_write_b64 v20, v[230:231] offset:19584                  // 00000000ACB4: D89A4C80 0000E614
	ds_write_b64 v20, v[234:235] offset:23936                  // 00000000ACBC: D89A5D80 0000EA14
	ds_write_b64 v20, v[238:239] offset:28288                  // 00000000ACC4: D89A6E80 0000EE14
	ds_write_b64 v20, v[242:243] offset:32640                  // 00000000ACCC: D89A7F80 0000F214
	ds_write_b64 v20, v[246:247] offset:36992                  // 00000000ACD4: D89A9080 0000F614
	ds_write_b64 v20, v[250:251] offset:41344                  // 00000000ACDC: D89AA180 0000FA14
	s_waitcnt lgkmcnt(0)                                       // 00000000ACE4: BF8CC07F
	s_barrier                                                  // 00000000ACE8: BF8A0000
	ds_read_b32 v174, v21                                      // 00000000ACEC: D86C0000 AE000015
	ds_read_b32 v175, v21 offset:64                            // 00000000ACF4: D86C0040 AF000015
	ds_read_b32 v178, v21 offset:2176                          // 00000000ACFC: D86C0880 B2000015
	ds_read_b32 v179, v21 offset:2240                          // 00000000AD04: D86C08C0 B3000015
	ds_read_b32 v182, v21 offset:4352                          // 00000000AD0C: D86C1100 B6000015
	ds_read_b32 v183, v21 offset:4416                          // 00000000AD14: D86C1140 B7000015
	ds_read_b32 v186, v21 offset:6528                          // 00000000AD1C: D86C1980 BA000015
	ds_read_b32 v187, v21 offset:6592                          // 00000000AD24: D86C19C0 BB000015
	ds_read_b32 v190, v21 offset:8704                          // 00000000AD2C: D86C2200 BE000015
	ds_read_b32 v191, v21 offset:8768                          // 00000000AD34: D86C2240 BF000015
	ds_read_b32 v194, v21 offset:10880                         // 00000000AD3C: D86C2A80 C2000015
	ds_read_b32 v195, v21 offset:10944                         // 00000000AD44: D86C2AC0 C3000015
	ds_read_b32 v198, v21 offset:13056                         // 00000000AD4C: D86C3300 C6000015
	ds_read_b32 v199, v21 offset:13120                         // 00000000AD54: D86C3340 C7000015
	ds_read_b32 v202, v21 offset:15232                         // 00000000AD5C: D86C3B80 CA000015
	ds_read_b32 v203, v21 offset:15296                         // 00000000AD64: D86C3BC0 CB000015
	ds_read_b32 v206, v21 offset:17408                         // 00000000AD6C: D86C4400 CE000015
	ds_read_b32 v207, v21 offset:17472                         // 00000000AD74: D86C4440 CF000015
	ds_read_b32 v210, v21 offset:19584                         // 00000000AD7C: D86C4C80 D2000015
	ds_read_b32 v211, v21 offset:19648                         // 00000000AD84: D86C4CC0 D3000015
	ds_read_b32 v214, v21 offset:21760                         // 00000000AD8C: D86C5500 D6000015
	ds_read_b32 v215, v21 offset:21824                         // 00000000AD94: D86C5540 D7000015
	ds_read_b32 v218, v21 offset:23936                         // 00000000AD9C: D86C5D80 DA000015
	ds_read_b32 v219, v21 offset:24000                         // 00000000ADA4: D86C5DC0 DB000015
	ds_read_b32 v222, v21 offset:26112                         // 00000000ADAC: D86C6600 DE000015
	ds_read_b32 v223, v21 offset:26176                         // 00000000ADB4: D86C6640 DF000015
	ds_read_b32 v226, v21 offset:28288                         // 00000000ADBC: D86C6E80 E2000015
	ds_read_b32 v227, v21 offset:28352                         // 00000000ADC4: D86C6EC0 E3000015
	ds_read_b32 v230, v21 offset:30464                         // 00000000ADCC: D86C7700 E6000015
	ds_read_b32 v231, v21 offset:30528                         // 00000000ADD4: D86C7740 E7000015
	ds_read_b32 v234, v21 offset:32640                         // 00000000ADDC: D86C7F80 EA000015
	ds_read_b32 v235, v21 offset:32704                         // 00000000ADE4: D86C7FC0 EB000015
	ds_read_b32 v238, v21 offset:34816                         // 00000000ADEC: D86C8800 EE000015
	ds_read_b32 v239, v21 offset:34880                         // 00000000ADF4: D86C8840 EF000015
	ds_read_b32 v242, v21 offset:36992                         // 00000000ADFC: D86C9080 F2000015
	ds_read_b32 v243, v21 offset:37056                         // 00000000AE04: D86C90C0 F3000015
	ds_read_b32 v246, v21 offset:39168                         // 00000000AE0C: D86C9900 F6000015
	ds_read_b32 v247, v21 offset:39232                         // 00000000AE14: D86C9940 F7000015
	ds_read_b32 v250, v21 offset:41344                         // 00000000AE1C: D86CA180 FA000015
	ds_read_b32 v251, v21 offset:41408                         // 00000000AE24: D86CA1C0 FB000015
	s_waitcnt lgkmcnt(0)                                       // 00000000AE2C: BF8CC07F
	v_mov_b32_e32 v7, 0                                        // 00000000AE30: 7E0E0280
	s_mov_b64 exec, s[36:37]                                   // 00000000AE34: BEFE0124
	v_mov_b32_e32 v6, v68                                      // 00000000AE38: 7E0C0344
	s_mov_b64 s[60:61], 0                                      // 00000000AE3C: BEBC0180
	v_readlane_b32 s82, v3, 0                                  // 00000000AE40: D2890052 00010103
	s_and_b32 s82, s82, 0xffffff                               // 00000000AE48: 8652FF52 00FFFFFF
	s_cmp_lt_u32 s82, s66                                      // 00000000AE50: BF0A4252
	s_cselect_b32 s20, s36, s60                                // 00000000AE54: 85143C24
	v_readlane_b32 s82, v3, 1                                  // 00000000AE58: D2890052 00010303
	s_and_b32 s82, s82, 0xffffff                               // 00000000AE60: 8652FF52 00FFFFFF
	s_cmp_lt_u32 s82, s66                                      // 00000000AE68: BF0A4252
	s_cselect_b32 s21, s36, s60                                // 00000000AE6C: 85153C24
	s_mov_b64 exec, s[20:21]                                   // 00000000AE70: BEFE0114
	global_atomic_add_f32 v6, v174, s[8:9] offset:8            // 00000000AE74: DD348008 0008AE06
	global_atomic_add_f32 v6, v178, s[8:9] offset:264          // 00000000AE7C: DD348108 0008B206
	s_mov_b64 exec, s[36:37]                                   // 00000000AE84: BEFE0124
	v_mov_b32_e32 v6, v69                                      // 00000000AE88: 7E0C0345
	s_mov_b64 s[60:61], 0                                      // 00000000AE8C: BEBC0180
	v_readlane_b32 s82, v3, 2                                  // 00000000AE90: D2890052 00010503
	s_and_b32 s82, s82, 0xffffff                               // 00000000AE98: 8652FF52 00FFFFFF
	s_cmp_lt_u32 s82, s66                                      // 00000000AEA0: BF0A4252
	s_cselect_b32 s20, s36, s60                                // 00000000AEA4: 85143C24
	v_readlane_b32 s82, v3, 3                                  // 00000000AEA8: D2890052 00010703
	s_and_b32 s82, s82, 0xffffff                               // 00000000AEB0: 8652FF52 00FFFFFF
	s_cmp_lt_u32 s82, s66                                      // 00000000AEB8: BF0A4252
	s_cselect_b32 s21, s36, s60                                // 00000000AEBC: 85153C24
	s_mov_b64 exec, s[20:21]                                   // 00000000AEC0: BEFE0114
	global_atomic_add_f32 v6, v175, s[8:9] offset:8            // 00000000AEC4: DD348008 0008AF06
	global_atomic_add_f32 v6, v179, s[8:9] offset:264          // 00000000AECC: DD348108 0008B306
	s_mov_b64 exec, s[36:37]                                   // 00000000AED4: BEFE0124
	v_mov_b32_e32 v6, v70                                      // 00000000AED8: 7E0C0346
	s_mov_b64 s[60:61], 0                                      // 00000000AEDC: BEBC0180
	v_readlane_b32 s82, v3, 4                                  // 00000000AEE0: D2890052 00010903
	s_and_b32 s82, s82, 0xffffff                               // 00000000AEE8: 8652FF52 00FFFFFF
	s_cmp_lt_u32 s82, s66                                      // 00000000AEF0: BF0A4252
	s_cselect_b32 s20, s36, s60                                // 00000000AEF4: 85143C24
	v_readlane_b32 s82, v3, 5                                  // 00000000AEF8: D2890052 00010B03
	s_and_b32 s82, s82, 0xffffff                               // 00000000AF00: 8652FF52 00FFFFFF
	s_cmp_lt_u32 s82, s66                                      // 00000000AF08: BF0A4252
	s_cselect_b32 s21, s36, s60                                // 00000000AF0C: 85153C24
	s_mov_b64 exec, s[20:21]                                   // 00000000AF10: BEFE0114
	global_atomic_add_f32 v6, v182, s[8:9] offset:8            // 00000000AF14: DD348008 0008B606
	global_atomic_add_f32 v6, v186, s[8:9] offset:264          // 00000000AF1C: DD348108 0008BA06
	s_mov_b64 exec, s[36:37]                                   // 00000000AF24: BEFE0124
	v_mov_b32_e32 v6, v71                                      // 00000000AF28: 7E0C0347
	s_mov_b64 s[60:61], 0                                      // 00000000AF2C: BEBC0180
	v_readlane_b32 s82, v3, 6                                  // 00000000AF30: D2890052 00010D03
	s_and_b32 s82, s82, 0xffffff                               // 00000000AF38: 8652FF52 00FFFFFF
	s_cmp_lt_u32 s82, s66                                      // 00000000AF40: BF0A4252
	s_cselect_b32 s20, s36, s60                                // 00000000AF44: 85143C24
	v_readlane_b32 s82, v3, 7                                  // 00000000AF48: D2890052 00010F03
	s_and_b32 s82, s82, 0xffffff                               // 00000000AF50: 8652FF52 00FFFFFF
	s_cmp_lt_u32 s82, s66                                      // 00000000AF58: BF0A4252
	s_cselect_b32 s21, s36, s60                                // 00000000AF5C: 85153C24
	s_mov_b64 exec, s[20:21]                                   // 00000000AF60: BEFE0114
	global_atomic_add_f32 v6, v183, s[8:9] offset:8            // 00000000AF64: DD348008 0008B706
	global_atomic_add_f32 v6, v187, s[8:9] offset:264          // 00000000AF6C: DD348108 0008BB06
	s_mov_b64 exec, s[36:37]                                   // 00000000AF74: BEFE0124
	v_mov_b32_e32 v6, v72                                      // 00000000AF78: 7E0C0348
	s_mov_b64 s[60:61], 0                                      // 00000000AF7C: BEBC0180
	v_readlane_b32 s82, v3, 8                                  // 00000000AF80: D2890052 00011103
	s_and_b32 s82, s82, 0xffffff                               // 00000000AF88: 8652FF52 00FFFFFF
	s_cmp_lt_u32 s82, s66                                      // 00000000AF90: BF0A4252
	s_cselect_b32 s20, s36, s60                                // 00000000AF94: 85143C24
	v_readlane_b32 s82, v3, 9                                  // 00000000AF98: D2890052 00011303
	s_and_b32 s82, s82, 0xffffff                               // 00000000AFA0: 8652FF52 00FFFFFF
	s_cmp_lt_u32 s82, s66                                      // 00000000AFA8: BF0A4252
	s_cselect_b32 s21, s36, s60                                // 00000000AFAC: 85153C24
	s_mov_b64 exec, s[20:21]                                   // 00000000AFB0: BEFE0114
	global_atomic_add_f32 v6, v190, s[8:9] offset:8            // 00000000AFB4: DD348008 0008BE06
	global_atomic_add_f32 v6, v194, s[8:9] offset:264          // 00000000AFBC: DD348108 0008C206
	s_mov_b64 exec, s[36:37]                                   // 00000000AFC4: BEFE0124
	v_mov_b32_e32 v6, v73                                      // 00000000AFC8: 7E0C0349
	s_mov_b64 s[60:61], 0                                      // 00000000AFCC: BEBC0180
	v_readlane_b32 s82, v3, 10                                 // 00000000AFD0: D2890052 00011503
	s_and_b32 s82, s82, 0xffffff                               // 00000000AFD8: 8652FF52 00FFFFFF
	s_cmp_lt_u32 s82, s66                                      // 00000000AFE0: BF0A4252
	s_cselect_b32 s20, s36, s60                                // 00000000AFE4: 85143C24
	v_readlane_b32 s82, v3, 11                                 // 00000000AFE8: D2890052 00011703
	s_and_b32 s82, s82, 0xffffff                               // 00000000AFF0: 8652FF52 00FFFFFF
	s_cmp_lt_u32 s82, s66                                      // 00000000AFF8: BF0A4252
	s_cselect_b32 s21, s36, s60                                // 00000000AFFC: 85153C24
	s_mov_b64 exec, s[20:21]                                   // 00000000B000: BEFE0114
	global_atomic_add_f32 v6, v191, s[8:9] offset:8            // 00000000B004: DD348008 0008BF06
	global_atomic_add_f32 v6, v195, s[8:9] offset:264          // 00000000B00C: DD348108 0008C306
	s_mov_b64 exec, s[36:37]                                   // 00000000B014: BEFE0124
	v_mov_b32_e32 v6, v74                                      // 00000000B018: 7E0C034A
	s_mov_b64 s[60:61], 0                                      // 00000000B01C: BEBC0180
	v_readlane_b32 s82, v3, 12                                 // 00000000B020: D2890052 00011903
	s_and_b32 s82, s82, 0xffffff                               // 00000000B028: 8652FF52 00FFFFFF
	s_cmp_lt_u32 s82, s66                                      // 00000000B030: BF0A4252
	s_cselect_b32 s20, s36, s60                                // 00000000B034: 85143C24
	v_readlane_b32 s82, v3, 13                                 // 00000000B038: D2890052 00011B03
	s_and_b32 s82, s82, 0xffffff                               // 00000000B040: 8652FF52 00FFFFFF
	s_cmp_lt_u32 s82, s66                                      // 00000000B048: BF0A4252
	s_cselect_b32 s21, s36, s60                                // 00000000B04C: 85153C24
	s_mov_b64 exec, s[20:21]                                   // 00000000B050: BEFE0114
	global_atomic_add_f32 v6, v198, s[8:9] offset:8            // 00000000B054: DD348008 0008C606
	global_atomic_add_f32 v6, v202, s[8:9] offset:264          // 00000000B05C: DD348108 0008CA06
	s_mov_b64 exec, s[36:37]                                   // 00000000B064: BEFE0124
	v_mov_b32_e32 v6, v75                                      // 00000000B068: 7E0C034B
	s_mov_b64 s[60:61], 0                                      // 00000000B06C: BEBC0180
	v_readlane_b32 s82, v3, 14                                 // 00000000B070: D2890052 00011D03
	s_and_b32 s82, s82, 0xffffff                               // 00000000B078: 8652FF52 00FFFFFF
	s_cmp_lt_u32 s82, s66                                      // 00000000B080: BF0A4252
	s_cselect_b32 s20, s36, s60                                // 00000000B084: 85143C24
	v_readlane_b32 s82, v3, 15                                 // 00000000B088: D2890052 00011F03
	s_and_b32 s82, s82, 0xffffff                               // 00000000B090: 8652FF52 00FFFFFF
	s_cmp_lt_u32 s82, s66                                      // 00000000B098: BF0A4252
	s_cselect_b32 s21, s36, s60                                // 00000000B09C: 85153C24
	s_mov_b64 exec, s[20:21]                                   // 00000000B0A0: BEFE0114
	global_atomic_add_f32 v6, v199, s[8:9] offset:8            // 00000000B0A4: DD348008 0008C706
	global_atomic_add_f32 v6, v203, s[8:9] offset:264          // 00000000B0AC: DD348108 0008CB06
	s_mov_b64 exec, s[36:37]                                   // 00000000B0B4: BEFE0124
	v_mov_b32_e32 v6, v76                                      // 00000000B0B8: 7E0C034C
	s_mov_b64 s[60:61], 0                                      // 00000000B0BC: BEBC0180
	v_readlane_b32 s82, v3, 16                                 // 00000000B0C0: D2890052 00012103
	s_and_b32 s82, s82, 0xffffff                               // 00000000B0C8: 8652FF52 00FFFFFF
	s_cmp_lt_u32 s82, s66                                      // 00000000B0D0: BF0A4252
	s_cselect_b32 s20, s36, s60                                // 00000000B0D4: 85143C24
	v_readlane_b32 s82, v3, 17                                 // 00000000B0D8: D2890052 00012303
	s_and_b32 s82, s82, 0xffffff                               // 00000000B0E0: 8652FF52 00FFFFFF
	s_cmp_lt_u32 s82, s66                                      // 00000000B0E8: BF0A4252
	s_cselect_b32 s21, s36, s60                                // 00000000B0EC: 85153C24
	s_mov_b64 exec, s[20:21]                                   // 00000000B0F0: BEFE0114
	global_atomic_add_f32 v6, v206, s[8:9] offset:8            // 00000000B0F4: DD348008 0008CE06
	global_atomic_add_f32 v6, v210, s[8:9] offset:264          // 00000000B0FC: DD348108 0008D206
	s_mov_b64 exec, s[36:37]                                   // 00000000B104: BEFE0124
	v_mov_b32_e32 v6, v77                                      // 00000000B108: 7E0C034D
	s_mov_b64 s[60:61], 0                                      // 00000000B10C: BEBC0180
	v_readlane_b32 s82, v3, 18                                 // 00000000B110: D2890052 00012503
	s_and_b32 s82, s82, 0xffffff                               // 00000000B118: 8652FF52 00FFFFFF
	s_cmp_lt_u32 s82, s66                                      // 00000000B120: BF0A4252
	s_cselect_b32 s20, s36, s60                                // 00000000B124: 85143C24
	v_readlane_b32 s82, v3, 19                                 // 00000000B128: D2890052 00012703
	s_and_b32 s82, s82, 0xffffff                               // 00000000B130: 8652FF52 00FFFFFF
	s_cmp_lt_u32 s82, s66                                      // 00000000B138: BF0A4252
	s_cselect_b32 s21, s36, s60                                // 00000000B13C: 85153C24
	s_mov_b64 exec, s[20:21]                                   // 00000000B140: BEFE0114
	global_atomic_add_f32 v6, v207, s[8:9] offset:8            // 00000000B144: DD348008 0008CF06
	global_atomic_add_f32 v6, v211, s[8:9] offset:264          // 00000000B14C: DD348108 0008D306
	s_mov_b64 exec, s[36:37]                                   // 00000000B154: BEFE0124
	v_mov_b32_e32 v6, v78                                      // 00000000B158: 7E0C034E
	s_mov_b64 s[60:61], 0                                      // 00000000B15C: BEBC0180
	v_readlane_b32 s82, v3, 20                                 // 00000000B160: D2890052 00012903
	s_and_b32 s82, s82, 0xffffff                               // 00000000B168: 8652FF52 00FFFFFF
	s_cmp_lt_u32 s82, s66                                      // 00000000B170: BF0A4252
	s_cselect_b32 s20, s36, s60                                // 00000000B174: 85143C24
	v_readlane_b32 s82, v3, 21                                 // 00000000B178: D2890052 00012B03
	s_and_b32 s82, s82, 0xffffff                               // 00000000B180: 8652FF52 00FFFFFF
	s_cmp_lt_u32 s82, s66                                      // 00000000B188: BF0A4252
	s_cselect_b32 s21, s36, s60                                // 00000000B18C: 85153C24
	s_mov_b64 exec, s[20:21]                                   // 00000000B190: BEFE0114
	global_atomic_add_f32 v6, v214, s[8:9] offset:8            // 00000000B194: DD348008 0008D606
	global_atomic_add_f32 v6, v218, s[8:9] offset:264          // 00000000B19C: DD348108 0008DA06
	s_mov_b64 exec, s[36:37]                                   // 00000000B1A4: BEFE0124
	v_mov_b32_e32 v6, v79                                      // 00000000B1A8: 7E0C034F
	s_mov_b64 s[60:61], 0                                      // 00000000B1AC: BEBC0180
	v_readlane_b32 s82, v3, 22                                 // 00000000B1B0: D2890052 00012D03
	s_and_b32 s82, s82, 0xffffff                               // 00000000B1B8: 8652FF52 00FFFFFF
	s_cmp_lt_u32 s82, s66                                      // 00000000B1C0: BF0A4252
	s_cselect_b32 s20, s36, s60                                // 00000000B1C4: 85143C24
	v_readlane_b32 s82, v3, 23                                 // 00000000B1C8: D2890052 00012F03
	s_and_b32 s82, s82, 0xffffff                               // 00000000B1D0: 8652FF52 00FFFFFF
	s_cmp_lt_u32 s82, s66                                      // 00000000B1D8: BF0A4252
	s_cselect_b32 s21, s36, s60                                // 00000000B1DC: 85153C24
	s_mov_b64 exec, s[20:21]                                   // 00000000B1E0: BEFE0114
	global_atomic_add_f32 v6, v215, s[8:9] offset:8            // 00000000B1E4: DD348008 0008D706
	global_atomic_add_f32 v6, v219, s[8:9] offset:264          // 00000000B1EC: DD348108 0008DB06
	s_mov_b64 exec, s[36:37]                                   // 00000000B1F4: BEFE0124
	v_mov_b32_e32 v6, v80                                      // 00000000B1F8: 7E0C0350
	s_mov_b64 s[60:61], 0                                      // 00000000B1FC: BEBC0180
	v_readlane_b32 s82, v3, 24                                 // 00000000B200: D2890052 00013103
	s_and_b32 s82, s82, 0xffffff                               // 00000000B208: 8652FF52 00FFFFFF
	s_cmp_lt_u32 s82, s66                                      // 00000000B210: BF0A4252
	s_cselect_b32 s20, s36, s60                                // 00000000B214: 85143C24
	v_readlane_b32 s82, v3, 25                                 // 00000000B218: D2890052 00013303
	s_and_b32 s82, s82, 0xffffff                               // 00000000B220: 8652FF52 00FFFFFF
	s_cmp_lt_u32 s82, s66                                      // 00000000B228: BF0A4252
	s_cselect_b32 s21, s36, s60                                // 00000000B22C: 85153C24
	s_mov_b64 exec, s[20:21]                                   // 00000000B230: BEFE0114
	global_atomic_add_f32 v6, v222, s[8:9] offset:8            // 00000000B234: DD348008 0008DE06
	global_atomic_add_f32 v6, v226, s[8:9] offset:264          // 00000000B23C: DD348108 0008E206
	s_mov_b64 exec, s[36:37]                                   // 00000000B244: BEFE0124
	v_mov_b32_e32 v6, v81                                      // 00000000B248: 7E0C0351
	s_mov_b64 s[60:61], 0                                      // 00000000B24C: BEBC0180
	v_readlane_b32 s82, v3, 26                                 // 00000000B250: D2890052 00013503
	s_and_b32 s82, s82, 0xffffff                               // 00000000B258: 8652FF52 00FFFFFF
	s_cmp_lt_u32 s82, s66                                      // 00000000B260: BF0A4252
	s_cselect_b32 s20, s36, s60                                // 00000000B264: 85143C24
	v_readlane_b32 s82, v3, 27                                 // 00000000B268: D2890052 00013703
	s_and_b32 s82, s82, 0xffffff                               // 00000000B270: 8652FF52 00FFFFFF
	s_cmp_lt_u32 s82, s66                                      // 00000000B278: BF0A4252
	s_cselect_b32 s21, s36, s60                                // 00000000B27C: 85153C24
	s_mov_b64 exec, s[20:21]                                   // 00000000B280: BEFE0114
	global_atomic_add_f32 v6, v223, s[8:9] offset:8            // 00000000B284: DD348008 0008DF06
	global_atomic_add_f32 v6, v227, s[8:9] offset:264          // 00000000B28C: DD348108 0008E306
	s_mov_b64 exec, s[36:37]                                   // 00000000B294: BEFE0124
	v_mov_b32_e32 v6, v82                                      // 00000000B298: 7E0C0352
	s_mov_b64 s[60:61], 0                                      // 00000000B29C: BEBC0180
	v_readlane_b32 s82, v3, 28                                 // 00000000B2A0: D2890052 00013903
	s_and_b32 s82, s82, 0xffffff                               // 00000000B2A8: 8652FF52 00FFFFFF
	s_cmp_lt_u32 s82, s66                                      // 00000000B2B0: BF0A4252
	s_cselect_b32 s20, s36, s60                                // 00000000B2B4: 85143C24
	v_readlane_b32 s82, v3, 29                                 // 00000000B2B8: D2890052 00013B03
	s_and_b32 s82, s82, 0xffffff                               // 00000000B2C0: 8652FF52 00FFFFFF
	s_cmp_lt_u32 s82, s66                                      // 00000000B2C8: BF0A4252
	s_cselect_b32 s21, s36, s60                                // 00000000B2CC: 85153C24
	s_mov_b64 exec, s[20:21]                                   // 00000000B2D0: BEFE0114
	global_atomic_add_f32 v6, v230, s[8:9] offset:8            // 00000000B2D4: DD348008 0008E606
	global_atomic_add_f32 v6, v234, s[8:9] offset:264          // 00000000B2DC: DD348108 0008EA06
	s_mov_b64 exec, s[36:37]                                   // 00000000B2E4: BEFE0124
	v_mov_b32_e32 v6, v83                                      // 00000000B2E8: 7E0C0353
	s_mov_b64 s[60:61], 0                                      // 00000000B2EC: BEBC0180
	v_readlane_b32 s82, v3, 30                                 // 00000000B2F0: D2890052 00013D03
	s_and_b32 s82, s82, 0xffffff                               // 00000000B2F8: 8652FF52 00FFFFFF
	s_cmp_lt_u32 s82, s66                                      // 00000000B300: BF0A4252
	s_cselect_b32 s20, s36, s60                                // 00000000B304: 85143C24
	v_readlane_b32 s82, v3, 31                                 // 00000000B308: D2890052 00013F03
	s_and_b32 s82, s82, 0xffffff                               // 00000000B310: 8652FF52 00FFFFFF
	s_cmp_lt_u32 s82, s66                                      // 00000000B318: BF0A4252
	s_cselect_b32 s21, s36, s60                                // 00000000B31C: 85153C24
	s_mov_b64 exec, s[20:21]                                   // 00000000B320: BEFE0114
	global_atomic_add_f32 v6, v231, s[8:9] offset:8            // 00000000B324: DD348008 0008E706
	global_atomic_add_f32 v6, v235, s[8:9] offset:264          // 00000000B32C: DD348108 0008EB06
	s_mov_b64 exec, s[36:37]                                   // 00000000B334: BEFE0124
	v_mov_b32_e32 v6, v84                                      // 00000000B338: 7E0C0354
	s_mov_b64 s[60:61], 0                                      // 00000000B33C: BEBC0180
	v_readlane_b32 s82, v3, 32                                 // 00000000B340: D2890052 00014103
	s_and_b32 s82, s82, 0xffffff                               // 00000000B348: 8652FF52 00FFFFFF
	s_cmp_lt_u32 s82, s66                                      // 00000000B350: BF0A4252
	s_cselect_b32 s20, s36, s60                                // 00000000B354: 85143C24
	v_readlane_b32 s82, v3, 33                                 // 00000000B358: D2890052 00014303
	s_and_b32 s82, s82, 0xffffff                               // 00000000B360: 8652FF52 00FFFFFF
	s_cmp_lt_u32 s82, s66                                      // 00000000B368: BF0A4252
	s_cselect_b32 s21, s36, s60                                // 00000000B36C: 85153C24
	s_mov_b64 exec, s[20:21]                                   // 00000000B370: BEFE0114
	global_atomic_add_f32 v6, v238, s[8:9] offset:8            // 00000000B374: DD348008 0008EE06
	global_atomic_add_f32 v6, v242, s[8:9] offset:264          // 00000000B37C: DD348108 0008F206
	s_mov_b64 exec, s[36:37]                                   // 00000000B384: BEFE0124
	v_mov_b32_e32 v6, v85                                      // 00000000B388: 7E0C0355
	s_mov_b64 s[60:61], 0                                      // 00000000B38C: BEBC0180
	v_readlane_b32 s82, v3, 34                                 // 00000000B390: D2890052 00014503
	s_and_b32 s82, s82, 0xffffff                               // 00000000B398: 8652FF52 00FFFFFF
	s_cmp_lt_u32 s82, s66                                      // 00000000B3A0: BF0A4252
	s_cselect_b32 s20, s36, s60                                // 00000000B3A4: 85143C24
	v_readlane_b32 s82, v3, 35                                 // 00000000B3A8: D2890052 00014703
	s_and_b32 s82, s82, 0xffffff                               // 00000000B3B0: 8652FF52 00FFFFFF
	s_cmp_lt_u32 s82, s66                                      // 00000000B3B8: BF0A4252
	s_cselect_b32 s21, s36, s60                                // 00000000B3BC: 85153C24
	s_mov_b64 exec, s[20:21]                                   // 00000000B3C0: BEFE0114
	global_atomic_add_f32 v6, v239, s[8:9] offset:8            // 00000000B3C4: DD348008 0008EF06
	global_atomic_add_f32 v6, v243, s[8:9] offset:264          // 00000000B3CC: DD348108 0008F306
	s_mov_b64 exec, s[36:37]                                   // 00000000B3D4: BEFE0124
	v_mov_b32_e32 v6, v86                                      // 00000000B3D8: 7E0C0356
	s_mov_b64 s[60:61], 0                                      // 00000000B3DC: BEBC0180
	v_readlane_b32 s82, v3, 36                                 // 00000000B3E0: D2890052 00014903
	s_and_b32 s82, s82, 0xffffff                               // 00000000B3E8: 8652FF52 00FFFFFF
	s_cmp_lt_u32 s82, s66                                      // 00000000B3F0: BF0A4252
	s_cselect_b32 s20, s36, s60                                // 00000000B3F4: 85143C24
	v_readlane_b32 s82, v3, 37                                 // 00000000B3F8: D2890052 00014B03
	s_and_b32 s82, s82, 0xffffff                               // 00000000B400: 8652FF52 00FFFFFF
	s_cmp_lt_u32 s82, s66                                      // 00000000B408: BF0A4252
	s_cselect_b32 s21, s36, s60                                // 00000000B40C: 85153C24
	s_mov_b64 exec, s[20:21]                                   // 00000000B410: BEFE0114
	global_atomic_add_f32 v6, v246, s[8:9] offset:8            // 00000000B414: DD348008 0008F606
	global_atomic_add_f32 v6, v250, s[8:9] offset:264          // 00000000B41C: DD348108 0008FA06
	s_mov_b64 exec, s[36:37]                                   // 00000000B424: BEFE0124
	v_mov_b32_e32 v6, v87                                      // 00000000B428: 7E0C0357
	s_mov_b64 s[60:61], 0                                      // 00000000B42C: BEBC0180
	v_readlane_b32 s82, v3, 38                                 // 00000000B430: D2890052 00014D03
	s_and_b32 s82, s82, 0xffffff                               // 00000000B438: 8652FF52 00FFFFFF
	s_cmp_lt_u32 s82, s66                                      // 00000000B440: BF0A4252
	s_cselect_b32 s20, s36, s60                                // 00000000B444: 85143C24
	v_readlane_b32 s82, v3, 39                                 // 00000000B448: D2890052 00014F03
	s_and_b32 s82, s82, 0xffffff                               // 00000000B450: 8652FF52 00FFFFFF
	s_cmp_lt_u32 s82, s66                                      // 00000000B458: BF0A4252
	s_cselect_b32 s21, s36, s60                                // 00000000B45C: 85153C24
	s_mov_b64 exec, s[20:21]                                   // 00000000B460: BEFE0114
	global_atomic_add_f32 v6, v247, s[8:9] offset:8            // 00000000B464: DD348008 0008F706
	global_atomic_add_f32 v6, v251, s[8:9] offset:264          // 00000000B46C: DD348108 0008FB06
	s_mov_b64 exec, s[36:37]                                   // 00000000B474: BEFE0124
	s_branch label_40FC                                        // 00000000B478: BF821E5A

000000000000b47c <label_22A2>:
	s_waitcnt vmcnt(2) lgkmcnt(0)                              // 00000000B47C: BF8C0072
	s_barrier                                                  // 00000000B480: BF8A0000
	v_mov_b32_e32 v58, v38                                     // 00000000B484: 7E740326
	v_mov_b32_e32 v59, v39                                     // 00000000B488: 7E760327
	v_mov_b32_e32 v60, v40                                     // 00000000B48C: 7E780328
	v_mov_b32_e32 v61, v41                                     // 00000000B490: 7E7A0329
	v_mov_b32_e32 v62, v42                                     // 00000000B494: 7E7C032A
	v_mov_b32_e32 v63, v43                                     // 00000000B498: 7E7E032B
	v_mov_b32_e32 v64, v44                                     // 00000000B49C: 7E80032C
	v_mov_b32_e32 v65, v45                                     // 00000000B4A0: 7E82032D
	v_mov_b32_e32 v66, v46                                     // 00000000B4A4: 7E84032E
	v_mov_b32_e32 v67, v47                                     // 00000000B4A8: 7E86032F
	v_mul_f32_dpp v4, v24, v58 row_newbcast:0 row_mask:0xf bank_mask:0xf// 00000000B4AC: 0A0874FA FF015018
	v_mfma_f32_16x16x32_fp8_fp8 v[8:11], a[160:161], a[0:1], 0 // 00000000B4B4: D3F30008 1A0201A0
	buffer_load_dword v27, v23, s[32:35], 0 offen              // 00000000B4BC: E0501000 80081B17
	buffer_load_dwordx4 a[176:179], v88, s[84:87], 0 offen     // 00000000B4C4: E05C1000 8095B058
	v_mfma_f32_16x16x32_fp8_fp8 v[8:11], a[162:163], a[2:3], v[8:11]// 00000000B4CC: D3F30008 1C2205A2
	v_mfma_f32_16x16x32_fp8_fp8 v[8:11], a[164:165], a[4:5], v[8:11]// 00000000B4D4: D3F30008 1C2209A4
	v_mfma_f32_16x16x32_fp8_fp8 v[8:11], a[166:167], a[6:7], v[8:11]// 00000000B4DC: D3F30008 1C220DA6
	v_mul_f32_dpp v6, v24, v59 row_newbcast:0 row_mask:0xf bank_mask:0xf// 00000000B4E4: 0A0C76FA FF015018
	v_mfma_f32_16x16x32_fp8_fp8 v[12:15], a[160:161], a[8:9], 0// 00000000B4EC: D3F3000C 1A0211A0
	buffer_load_dwordx4 a[180:183], v88, s[84:87], 0 offen offset:1024// 00000000B4F4: E05C1400 8095B458
	v_mfma_f32_16x16x32_fp8_fp8 v[12:15], a[162:163], a[10:11], v[12:15]// 00000000B4FC: D3F3000C 1C3215A2
	v_mfma_f32_16x16x32_fp8_fp8 v[12:15], a[164:165], a[12:13], v[12:15]// 00000000B504: D3F3000C 1C3219A4
	v_mfma_f32_16x16x32_fp8_fp8 v[12:15], a[166:167], a[14:15], v[12:15]// 00000000B50C: D3F3000C 1C321DA6
	v_fma_f32 v92, v8, v4, v92                                 // 00000000B514: D1CB005C 05720908
	v_fma_f32 v93, v9, v4, v93                                 // 00000000B51C: D1CB005D 05760909
	v_fma_f32 v94, v10, v4, v94                                // 00000000B524: D1CB005E 057A090A
	v_fma_f32 v95, v11, v4, v95                                // 00000000B52C: D1CB005F 057E090B
	v_mul_f32_dpp v4, v24, v60 row_newbcast:0 row_mask:0xf bank_mask:0xf// 00000000B534: 0A0878FA FF015018
	v_mfma_f32_16x16x32_fp8_fp8 v[8:11], a[160:161], a[16:17], 0// 00000000B53C: D3F30008 1A0221A0
	buffer_load_dwordx4 a[184:187], v89, s[84:87], 0 offen     // 00000000B544: E05C1000 8095B859
	v_mfma_f32_16x16x32_fp8_fp8 v[8:11], a[162:163], a[18:19], v[8:11]// 00000000B54C: D3F30008 1C2225A2
	v_mfma_f32_16x16x32_fp8_fp8 v[8:11], a[164:165], a[20:21], v[8:11]// 00000000B554: D3F30008 1C2229A4
	v_mfma_f32_16x16x32_fp8_fp8 v[8:11], a[166:167], a[22:23], v[8:11]// 00000000B55C: D3F30008 1C222DA6
	v_fma_f32 v96, v12, v6, v96                                // 00000000B564: D1CB0060 05820D0C
	v_fma_f32 v97, v13, v6, v97                                // 00000000B56C: D1CB0061 05860D0D
	v_fma_f32 v98, v14, v6, v98                                // 00000000B574: D1CB0062 058A0D0E
	v_fma_f32 v99, v15, v6, v99                                // 00000000B57C: D1CB0063 058E0D0F
	v_mul_f32_dpp v6, v24, v61 row_newbcast:0 row_mask:0xf bank_mask:0xf// 00000000B584: 0A0C7AFA FF015018
	v_mfma_f32_16x16x32_fp8_fp8 v[12:15], a[160:161], a[24:25], 0// 00000000B58C: D3F3000C 1A0231A0
	buffer_load_dwordx4 a[188:191], v89, s[84:87], 0 offen offset:1024// 00000000B594: E05C1400 8095BC59
	buffer_load_dword v68, s[20:23], 0 offen lds               // 00000000B59C: E0511000 80050044
	s_add_u32 m0, 0x100, s48                                   // 00000000B5A4: 807C30FF 00000100
	v_mfma_f32_16x16x32_fp8_fp8 v[12:15], a[162:163], a[26:27], v[12:15]// 00000000B5AC: D3F3000C 1C3235A2
	v_mfma_f32_16x16x32_fp8_fp8 v[12:15], a[164:165], a[28:29], v[12:15]// 00000000B5B4: D3F3000C 1C3239A4
	buffer_load_dword v69, s[20:23], 0 offen lds               // 00000000B5BC: E0511000 80050045
	s_add_u32 m0, 0x200, s48                                   // 00000000B5C4: 807C30FF 00000200
	v_mfma_f32_16x16x32_fp8_fp8 v[12:15], a[166:167], a[30:31], v[12:15]// 00000000B5CC: D3F3000C 1C323DA6
	v_fma_f32 v100, v8, v4, v100                               // 00000000B5D4: D1CB0064 05920908
	v_fma_f32 v101, v9, v4, v101                               // 00000000B5DC: D1CB0065 05960909
	v_fma_f32 v102, v10, v4, v102                              // 00000000B5E4: D1CB0066 059A090A
	v_fma_f32 v103, v11, v4, v103                              // 00000000B5EC: D1CB0067 059E090B
	v_mul_f32_dpp v4, v24, v62 row_newbcast:0 row_mask:0xf bank_mask:0xf// 00000000B5F4: 0A087CFA FF015018
	v_mfma_f32_16x16x32_fp8_fp8 v[8:11], a[160:161], a[32:33], 0// 00000000B5FC: D3F30008 1A0241A0
	buffer_load_dword v70, s[20:23], 0 offen lds               // 00000000B604: E0511000 80050046
	s_add_u32 m0, 0x300, s48                                   // 00000000B60C: 807C30FF 00000300
	v_mfma_f32_16x16x32_fp8_fp8 v[8:11], a[162:163], a[34:35], v[8:11]// 00000000B614: D3F30008 1C2245A2
	v_mfma_f32_16x16x32_fp8_fp8 v[8:11], a[164:165], a[36:37], v[8:11]// 00000000B61C: D3F30008 1C2249A4
	buffer_load_dword v71, s[20:23], 0 offen lds               // 00000000B624: E0511000 80050047
	s_add_u32 m0, 0x400, s48                                   // 00000000B62C: 807C30FF 00000400
	v_mfma_f32_16x16x32_fp8_fp8 v[8:11], a[166:167], a[38:39], v[8:11]// 00000000B634: D3F30008 1C224DA6
	v_fma_f32 v104, v12, v6, v104                              // 00000000B63C: D1CB0068 05A20D0C
	v_fma_f32 v105, v13, v6, v105                              // 00000000B644: D1CB0069 05A60D0D
	v_fma_f32 v106, v14, v6, v106                              // 00000000B64C: D1CB006A 05AA0D0E
	v_fma_f32 v107, v15, v6, v107                              // 00000000B654: D1CB006B 05AE0D0F
	v_mul_f32_dpp v6, v24, v63 row_newbcast:0 row_mask:0xf bank_mask:0xf// 00000000B65C: 0A0C7EFA FF015018
	v_mfma_f32_16x16x32_fp8_fp8 v[12:15], a[160:161], a[40:41], 0// 00000000B664: D3F3000C 1A0251A0
	buffer_load_dword v72, s[20:23], 0 offen lds               // 00000000B66C: E0511000 80050048
	s_add_u32 m0, 0x500, s48                                   // 00000000B674: 807C30FF 00000500
	v_mfma_f32_16x16x32_fp8_fp8 v[12:15], a[162:163], a[42:43], v[12:15]// 00000000B67C: D3F3000C 1C3255A2
	v_mfma_f32_16x16x32_fp8_fp8 v[12:15], a[164:165], a[44:45], v[12:15]// 00000000B684: D3F3000C 1C3259A4
	buffer_load_dword v73, s[20:23], 0 offen lds               // 00000000B68C: E0511000 80050049
	s_add_u32 m0, 0x600, s48                                   // 00000000B694: 807C30FF 00000600
	v_mfma_f32_16x16x32_fp8_fp8 v[12:15], a[166:167], a[46:47], v[12:15]// 00000000B69C: D3F3000C 1C325DA6
	v_fma_f32 v108, v8, v4, v108                               // 00000000B6A4: D1CB006C 05B20908
	v_fma_f32 v109, v9, v4, v109                               // 00000000B6AC: D1CB006D 05B60909
	v_fma_f32 v110, v10, v4, v110                              // 00000000B6B4: D1CB006E 05BA090A
	v_fma_f32 v111, v11, v4, v111                              // 00000000B6BC: D1CB006F 05BE090B
	v_mul_f32_dpp v4, v24, v64 row_newbcast:0 row_mask:0xf bank_mask:0xf// 00000000B6C4: 0A0880FA FF015018
	v_mfma_f32_16x16x32_fp8_fp8 v[8:11], a[160:161], a[48:49], 0// 00000000B6CC: D3F30008 1A0261A0
	buffer_load_dword v74, s[20:23], 0 offen lds               // 00000000B6D4: E0511000 8005004A
	s_add_u32 m0, 0x700, s48                                   // 00000000B6DC: 807C30FF 00000700
	v_mfma_f32_16x16x32_fp8_fp8 v[8:11], a[162:163], a[50:51], v[8:11]// 00000000B6E4: D3F30008 1C2265A2
	v_mfma_f32_16x16x32_fp8_fp8 v[8:11], a[164:165], a[52:53], v[8:11]// 00000000B6EC: D3F30008 1C2269A4
	buffer_load_dword v75, s[20:23], 0 offen lds               // 00000000B6F4: E0511000 8005004B
	s_add_u32 m0, 0x800, s48                                   // 00000000B6FC: 807C30FF 00000800
	v_mfma_f32_16x16x32_fp8_fp8 v[8:11], a[166:167], a[54:55], v[8:11]// 00000000B704: D3F30008 1C226DA6
	v_fma_f32 v112, v12, v6, v112                              // 00000000B70C: D1CB0070 05C20D0C
	v_fma_f32 v113, v13, v6, v113                              // 00000000B714: D1CB0071 05C60D0D
	v_fma_f32 v114, v14, v6, v114                              // 00000000B71C: D1CB0072 05CA0D0E
	v_fma_f32 v115, v15, v6, v115                              // 00000000B724: D1CB0073 05CE0D0F
	v_mul_f32_dpp v6, v24, v65 row_newbcast:0 row_mask:0xf bank_mask:0xf// 00000000B72C: 0A0C82FA FF015018
	v_mfma_f32_16x16x32_fp8_fp8 v[12:15], a[160:161], a[56:57], 0// 00000000B734: D3F3000C 1A0271A0
	buffer_load_dword v76, s[20:23], 0 offen lds               // 00000000B73C: E0511000 8005004C
	s_add_u32 m0, 0x900, s48                                   // 00000000B744: 807C30FF 00000900
	v_mfma_f32_16x16x32_fp8_fp8 v[12:15], a[162:163], a[58:59], v[12:15]// 00000000B74C: D3F3000C 1C3275A2
	v_mfma_f32_16x16x32_fp8_fp8 v[12:15], a[164:165], a[60:61], v[12:15]// 00000000B754: D3F3000C 1C3279A4
	buffer_load_dword v77, s[20:23], 0 offen lds               // 00000000B75C: E0511000 8005004D
	s_add_u32 m0, 0xa00, s48                                   // 00000000B764: 807C30FF 00000A00
	v_mfma_f32_16x16x32_fp8_fp8 v[12:15], a[166:167], a[62:63], v[12:15]// 00000000B76C: D3F3000C 1C327DA6
	v_fma_f32 v116, v8, v4, v116                               // 00000000B774: D1CB0074 05D20908
	v_fma_f32 v117, v9, v4, v117                               // 00000000B77C: D1CB0075 05D60909
	v_fma_f32 v118, v10, v4, v118                              // 00000000B784: D1CB0076 05DA090A
	v_fma_f32 v119, v11, v4, v119                              // 00000000B78C: D1CB0077 05DE090B
	v_mul_f32_dpp v4, v24, v66 row_newbcast:0 row_mask:0xf bank_mask:0xf// 00000000B794: 0A0884FA FF015018
	v_mfma_f32_16x16x32_fp8_fp8 v[8:11], a[160:161], a[64:65], 0// 00000000B79C: D3F30008 1A0281A0
	buffer_load_dword v78, s[20:23], 0 offen lds               // 00000000B7A4: E0511000 8005004E
	s_add_u32 m0, 0xb00, s48                                   // 00000000B7AC: 807C30FF 00000B00
	v_mfma_f32_16x16x32_fp8_fp8 v[8:11], a[162:163], a[66:67], v[8:11]// 00000000B7B4: D3F30008 1C2285A2
	v_mfma_f32_16x16x32_fp8_fp8 v[8:11], a[164:165], a[68:69], v[8:11]// 00000000B7BC: D3F30008 1C2289A4
	buffer_load_dword v79, s[20:23], 0 offen lds               // 00000000B7C4: E0511000 8005004F
	s_add_u32 m0, 0xc00, s48                                   // 00000000B7CC: 807C30FF 00000C00
	v_mfma_f32_16x16x32_fp8_fp8 v[8:11], a[166:167], a[70:71], v[8:11]// 00000000B7D4: D3F30008 1C228DA6
	v_fma_f32 v120, v12, v6, v120                              // 00000000B7DC: D1CB0078 05E20D0C
	v_fma_f32 v121, v13, v6, v121                              // 00000000B7E4: D1CB0079 05E60D0D
	v_fma_f32 v122, v14, v6, v122                              // 00000000B7EC: D1CB007A 05EA0D0E
	v_fma_f32 v123, v15, v6, v123                              // 00000000B7F4: D1CB007B 05EE0D0F
	v_mul_f32_dpp v6, v24, v67 row_newbcast:0 row_mask:0xf bank_mask:0xf// 00000000B7FC: 0A0C86FA FF015018
	v_mfma_f32_16x16x32_fp8_fp8 v[12:15], a[160:161], a[72:73], 0// 00000000B804: D3F3000C 1A0291A0
	buffer_load_dword v80, s[20:23], 0 offen lds               // 00000000B80C: E0511000 80050050
	s_add_u32 m0, 0xd00, s48                                   // 00000000B814: 807C30FF 00000D00
	v_mfma_f32_16x16x32_fp8_fp8 v[12:15], a[162:163], a[74:75], v[12:15]// 00000000B81C: D3F3000C 1C3295A2
	v_mfma_f32_16x16x32_fp8_fp8 v[12:15], a[164:165], a[76:77], v[12:15]// 00000000B824: D3F3000C 1C3299A4
	buffer_load_dword v81, s[20:23], 0 offen lds               // 00000000B82C: E0511000 80050051
	s_add_u32 m0, 0xe00, s48                                   // 00000000B834: 807C30FF 00000E00
	v_mfma_f32_16x16x32_fp8_fp8 v[12:15], a[166:167], a[78:79], v[12:15]// 00000000B83C: D3F3000C 1C329DA6
	v_fma_f32 v124, v8, v4, v124                               // 00000000B844: D1CB007C 05F20908
	v_fma_f32 v125, v9, v4, v125                               // 00000000B84C: D1CB007D 05F60909
	v_fma_f32 v126, v10, v4, v126                              // 00000000B854: D1CB007E 05FA090A
	v_fma_f32 v127, v11, v4, v127                              // 00000000B85C: D1CB007F 05FE090B
	s_waitcnt vmcnt(19)                                        // 00000000B864: BF8C4F73
	v_mul_f32_dpp v4, v24, v58 row_newbcast:0 row_mask:0xf bank_mask:0xf// 00000000B868: 0A0874FA FF015018
	v_mfma_f32_16x16x32_fp8_fp8 v[8:11], a[168:169], a[0:1], 0 // 00000000B870: D3F30008 1A0201A8
	buffer_load_dword v82, s[20:23], 0 offen lds               // 00000000B878: E0511000 80050052
	s_add_u32 m0, 0xf00, s48                                   // 00000000B880: 807C30FF 00000F00
	v_mfma_f32_16x16x32_fp8_fp8 v[8:11], a[170:171], a[2:3], v[8:11]// 00000000B888: D3F30008 1C2205AA
	v_mfma_f32_16x16x32_fp8_fp8 v[8:11], a[172:173], a[4:5], v[8:11]// 00000000B890: D3F30008 1C2209AC
	buffer_load_dword v83, s[20:23], 0 offen lds               // 00000000B898: E0511000 80050053
	s_add_u32 m0, 0x1000, s48                                  // 00000000B8A0: 807C30FF 00001000
	v_mfma_f32_16x16x32_fp8_fp8 v[8:11], a[174:175], a[6:7], v[8:11]// 00000000B8A8: D3F30008 1C220DAE
	v_fma_f32 v128, v12, v6, v128                              // 00000000B8B0: D1CB0080 06020D0C
	v_fma_f32 v129, v13, v6, v129                              // 00000000B8B8: D1CB0081 06060D0D
	v_fma_f32 v130, v14, v6, v130                              // 00000000B8C0: D1CB0082 060A0D0E
	v_fma_f32 v131, v15, v6, v131                              // 00000000B8C8: D1CB0083 060E0D0F
	v_mul_f32_dpp v6, v24, v59 row_newbcast:0 row_mask:0xf bank_mask:0xf// 00000000B8D0: 0A0C76FA FF015018
	v_mfma_f32_16x16x32_fp8_fp8 v[12:15], a[168:169], a[8:9], 0// 00000000B8D8: D3F3000C 1A0211A8
	buffer_load_dword v84, s[20:23], 0 offen lds               // 00000000B8E0: E0511000 80050054
	s_add_u32 m0, 0x1100, s48                                  // 00000000B8E8: 807C30FF 00001100
	v_mfma_f32_16x16x32_fp8_fp8 v[12:15], a[170:171], a[10:11], v[12:15]// 00000000B8F0: D3F3000C 1C3215AA
	v_mfma_f32_16x16x32_fp8_fp8 v[12:15], a[172:173], a[12:13], v[12:15]// 00000000B8F8: D3F3000C 1C3219AC
	buffer_load_dword v85, s[20:23], 0 offen lds               // 00000000B900: E0511000 80050055
	s_add_u32 m0, 0x1200, s48                                  // 00000000B908: 807C30FF 00001200
	v_mfma_f32_16x16x32_fp8_fp8 v[12:15], a[174:175], a[14:15], v[12:15]// 00000000B910: D3F3000C 1C321DAE
	v_fma_f32 v132, v8, v4, v132                               // 00000000B918: D1CB0084 06120908
	v_fma_f32 v133, v9, v4, v133                               // 00000000B920: D1CB0085 06160909
	v_fma_f32 v134, v10, v4, v134                              // 00000000B928: D1CB0086 061A090A
	v_fma_f32 v135, v11, v4, v135                              // 00000000B930: D1CB0087 061E090B
	v_mul_f32_dpp v4, v24, v60 row_newbcast:0 row_mask:0xf bank_mask:0xf// 00000000B938: 0A0878FA FF015018
	v_mfma_f32_16x16x32_fp8_fp8 v[8:11], a[168:169], a[16:17], 0// 00000000B940: D3F30008 1A0221A8
	buffer_load_dword v86, s[20:23], 0 offen lds               // 00000000B948: E0511000 80050056
	s_add_u32 m0, 0x1300, s48                                  // 00000000B950: 807C30FF 00001300
	v_mfma_f32_16x16x32_fp8_fp8 v[8:11], a[170:171], a[18:19], v[8:11]// 00000000B958: D3F30008 1C2225AA
	v_mfma_f32_16x16x32_fp8_fp8 v[8:11], a[172:173], a[20:21], v[8:11]// 00000000B960: D3F30008 1C2229AC
	buffer_load_dword v87, s[20:23], 0 offen lds               // 00000000B968: E0511000 80050057
	s_add_u32 m0, 0, s49                                       // 00000000B970: 807C3180
	v_mfma_f32_16x16x32_fp8_fp8 v[8:11], a[174:175], a[22:23], v[8:11]// 00000000B974: D3F30008 1C222DAE
	v_fma_f32 v136, v12, v6, v136                              // 00000000B97C: D1CB0088 06220D0C
	v_fma_f32 v137, v13, v6, v137                              // 00000000B984: D1CB0089 06260D0D
	v_fma_f32 v138, v14, v6, v138                              // 00000000B98C: D1CB008A 062A0D0E
	v_fma_f32 v139, v15, v6, v139                              // 00000000B994: D1CB008B 062E0D0F
	v_mul_f32_dpp v6, v24, v61 row_newbcast:0 row_mask:0xf bank_mask:0xf// 00000000B99C: 0A0C7AFA FF015018
	v_mfma_f32_16x16x32_fp8_fp8 v[12:15], a[168:169], a[24:25], 0// 00000000B9A4: D3F3000C 1A0231A8
	buffer_load_dword v38, v28, s[28:31], 0 offen              // 00000000B9AC: E0501000 8007261C
	v_mfma_f32_16x16x32_fp8_fp8 v[12:15], a[170:171], a[26:27], v[12:15]// 00000000B9B4: D3F3000C 1C3235AA
	v_mfma_f32_16x16x32_fp8_fp8 v[12:15], a[172:173], a[28:29], v[12:15]// 00000000B9BC: D3F3000C 1C3239AC
	buffer_load_dword v39, v29, s[28:31], 0 offen              // 00000000B9C4: E0501000 8007271D
	v_mfma_f32_16x16x32_fp8_fp8 v[12:15], a[174:175], a[30:31], v[12:15]// 00000000B9CC: D3F3000C 1C323DAE
	v_fma_f32 v140, v8, v4, v140                               // 00000000B9D4: D1CB008C 06320908
	v_fma_f32 v141, v9, v4, v141                               // 00000000B9DC: D1CB008D 06360909
	v_fma_f32 v142, v10, v4, v142                              // 00000000B9E4: D1CB008E 063A090A
	v_fma_f32 v143, v11, v4, v143                              // 00000000B9EC: D1CB008F 063E090B
	v_mul_f32_dpp v4, v24, v62 row_newbcast:0 row_mask:0xf bank_mask:0xf// 00000000B9F4: 0A087CFA FF015018
	v_mfma_f32_16x16x32_fp8_fp8 v[8:11], a[168:169], a[32:33], 0// 00000000B9FC: D3F30008 1A0241A8
	buffer_load_dword v40, v30, s[28:31], 0 offen              // 00000000BA04: E0501000 8007281E
	v_mfma_f32_16x16x32_fp8_fp8 v[8:11], a[170:171], a[34:35], v[8:11]// 00000000BA0C: D3F30008 1C2245AA
	v_mfma_f32_16x16x32_fp8_fp8 v[8:11], a[172:173], a[36:37], v[8:11]// 00000000BA14: D3F30008 1C2249AC
	buffer_load_dword v41, v31, s[28:31], 0 offen              // 00000000BA1C: E0501000 8007291F
	v_mfma_f32_16x16x32_fp8_fp8 v[8:11], a[174:175], a[38:39], v[8:11]// 00000000BA24: D3F30008 1C224DAE
	v_fma_f32 v144, v12, v6, v144                              // 00000000BA2C: D1CB0090 06420D0C
	v_fma_f32 v145, v13, v6, v145                              // 00000000BA34: D1CB0091 06460D0D
	v_fma_f32 v146, v14, v6, v146                              // 00000000BA3C: D1CB0092 064A0D0E
	v_fma_f32 v147, v15, v6, v147                              // 00000000BA44: D1CB0093 064E0D0F
	v_mul_f32_dpp v6, v24, v63 row_newbcast:0 row_mask:0xf bank_mask:0xf// 00000000BA4C: 0A0C7EFA FF015018
	v_mfma_f32_16x16x32_fp8_fp8 v[12:15], a[168:169], a[40:41], 0// 00000000BA54: D3F3000C 1A0251A8
	buffer_load_dword v42, v32, s[28:31], 0 offen              // 00000000BA5C: E0501000 80072A20
	v_mfma_f32_16x16x32_fp8_fp8 v[12:15], a[170:171], a[42:43], v[12:15]// 00000000BA64: D3F3000C 1C3255AA
	v_mfma_f32_16x16x32_fp8_fp8 v[12:15], a[172:173], a[44:45], v[12:15]// 00000000BA6C: D3F3000C 1C3259AC
	buffer_load_dword v43, v33, s[28:31], 0 offen              // 00000000BA74: E0501000 80072B21
	v_mfma_f32_16x16x32_fp8_fp8 v[12:15], a[174:175], a[46:47], v[12:15]// 00000000BA7C: D3F3000C 1C325DAE
	v_fma_f32 v148, v8, v4, v148                               // 00000000BA84: D1CB0094 06520908
	v_fma_f32 v149, v9, v4, v149                               // 00000000BA8C: D1CB0095 06560909
	v_fma_f32 v150, v10, v4, v150                              // 00000000BA94: D1CB0096 065A090A
	v_fma_f32 v151, v11, v4, v151                              // 00000000BA9C: D1CB0097 065E090B
	v_mul_f32_dpp v4, v24, v64 row_newbcast:0 row_mask:0xf bank_mask:0xf// 00000000BAA4: 0A0880FA FF015018
	v_mfma_f32_16x16x32_fp8_fp8 v[8:11], a[168:169], a[48:49], 0// 00000000BAAC: D3F30008 1A0261A8
	buffer_load_dword v44, v34, s[28:31], 0 offen              // 00000000BAB4: E0501000 80072C22
	v_mfma_f32_16x16x32_fp8_fp8 v[8:11], a[170:171], a[50:51], v[8:11]// 00000000BABC: D3F30008 1C2265AA
	v_mfma_f32_16x16x32_fp8_fp8 v[8:11], a[172:173], a[52:53], v[8:11]// 00000000BAC4: D3F30008 1C2269AC
	buffer_load_dword v45, v35, s[28:31], 0 offen              // 00000000BACC: E0501000 80072D23
	v_mfma_f32_16x16x32_fp8_fp8 v[8:11], a[174:175], a[54:55], v[8:11]// 00000000BAD4: D3F30008 1C226DAE
	v_fma_f32 v152, v12, v6, v152                              // 00000000BADC: D1CB0098 06620D0C
	v_fma_f32 v153, v13, v6, v153                              // 00000000BAE4: D1CB0099 06660D0D
	v_fma_f32 v154, v14, v6, v154                              // 00000000BAEC: D1CB009A 066A0D0E
	v_fma_f32 v155, v15, v6, v155                              // 00000000BAF4: D1CB009B 066E0D0F
	v_mul_f32_dpp v6, v24, v65 row_newbcast:0 row_mask:0xf bank_mask:0xf// 00000000BAFC: 0A0C82FA FF015018
	v_mfma_f32_16x16x32_fp8_fp8 v[12:15], a[168:169], a[56:57], 0// 00000000BB04: D3F3000C 1A0271A8
	buffer_load_dword v46, v36, s[28:31], 0 offen              // 00000000BB0C: E0501000 80072E24
	v_mfma_f32_16x16x32_fp8_fp8 v[12:15], a[170:171], a[58:59], v[12:15]// 00000000BB14: D3F3000C 1C3275AA
	v_mfma_f32_16x16x32_fp8_fp8 v[12:15], a[172:173], a[60:61], v[12:15]// 00000000BB1C: D3F3000C 1C3279AC
	buffer_load_dword v47, v37, s[28:31], 0 offen              // 00000000BB24: E0501000 80072F25
	v_mfma_f32_16x16x32_fp8_fp8 v[12:15], a[174:175], a[62:63], v[12:15]// 00000000BB2C: D3F3000C 1C327DAE
	v_fma_f32 v156, v8, v4, v156                               // 00000000BB34: D1CB009C 06720908
	v_fma_f32 v157, v9, v4, v157                               // 00000000BB3C: D1CB009D 06760909
	v_fma_f32 v158, v10, v4, v158                              // 00000000BB44: D1CB009E 067A090A
	v_fma_f32 v159, v11, v4, v159                              // 00000000BB4C: D1CB009F 067E090B
	v_mul_f32_dpp v4, v24, v66 row_newbcast:0 row_mask:0xf bank_mask:0xf// 00000000BB54: 0A0884FA FF015018
	v_mfma_f32_16x16x32_fp8_fp8 v[8:11], a[168:169], a[64:65], 0// 00000000BB5C: D3F30008 1A0281A8
	v_mfma_f32_16x16x32_fp8_fp8 v[8:11], a[170:171], a[66:67], v[8:11]// 00000000BB64: D3F30008 1C2285AA
	v_mfma_f32_16x16x32_fp8_fp8 v[8:11], a[172:173], a[68:69], v[8:11]// 00000000BB6C: D3F30008 1C2289AC
	v_mfma_f32_16x16x32_fp8_fp8 v[8:11], a[174:175], a[70:71], v[8:11]// 00000000BB74: D3F30008 1C228DAE
	v_fma_f32 v160, v12, v6, v160                              // 00000000BB7C: D1CB00A0 06820D0C
	v_fma_f32 v161, v13, v6, v161                              // 00000000BB84: D1CB00A1 06860D0D
	v_fma_f32 v162, v14, v6, v162                              // 00000000BB8C: D1CB00A2 068A0D0E
	v_fma_f32 v163, v15, v6, v163                              // 00000000BB94: D1CB00A3 068E0D0F
	v_mul_f32_dpp v6, v24, v67 row_newbcast:0 row_mask:0xf bank_mask:0xf// 00000000BB9C: 0A0C86FA FF015018
	v_mfma_f32_16x16x32_fp8_fp8 v[12:15], a[168:169], a[72:73], 0// 00000000BBA4: D3F3000C 1A0291A8
	v_mfma_f32_16x16x32_fp8_fp8 v[12:15], a[170:171], a[74:75], v[12:15]// 00000000BBAC: D3F3000C 1C3295AA
	s_add_u32 s60, 0x80, s80                                   // 00000000BBB4: 803C50FF 00000080
	s_cmp_lt_u32 s60, s81                                      // 00000000BBBC: BF0A513C
	s_cselect_b32 s83, s83, 0                                  // 00000000BBC0: 85538053
	s_cselect_b32 s4, s4, 0                                    // 00000000BBC4: 85048004
	v_mfma_f32_16x16x32_fp8_fp8 v[12:15], a[172:173], a[76:77], v[12:15]// 00000000BBC8: D3F3000C 1C3299AC
	s_add_u32 s32, s4, s32                                     // 00000000BBD0: 80202004
	s_addc_u32 s33, 0, s33                                     // 00000000BBD4: 82212180
	v_mfma_f32_16x16x32_fp8_fp8 v[12:15], a[174:175], a[78:79], v[12:15]// 00000000BBD8: D3F3000C 1C329DAE
	v_fma_f32 v164, v8, v4, v164                               // 00000000BBE0: D1CB00A4 06920908
	v_fma_f32 v165, v9, v4, v165                               // 00000000BBE8: D1CB00A5 06960909
	v_fma_f32 v166, v10, v4, v166                              // 00000000BBF0: D1CB00A6 069A090A
	v_fma_f32 v167, v11, v4, v167                              // 00000000BBF8: D1CB00A7 069E090B
	v_fma_f32 v168, v12, v6, v168                              // 00000000BC00: D1CB00A8 06A20D0C
	v_fma_f32 v169, v13, v6, v169                              // 00000000BC08: D1CB00A9 06A60D0D
	v_fma_f32 v170, v14, v6, v170                              // 00000000BC10: D1CB00AA 06AA0D0E
	v_fma_f32 v171, v15, v6, v171                              // 00000000BC18: D1CB00AB 06AE0D0F
	s_waitcnt vmcnt(30)                                        // 00000000BC20: BF8C4F7E
	v_mul_f32_dpp v4, v27, v58 row_newbcast:0 row_mask:0xf bank_mask:0xf// 00000000BC24: 0A0874FA FF01501B
	v_mfma_f32_16x16x32_fp8_fp8 v[8:11], a[176:177], a[0:1], 0 // 00000000BC2C: D3F30008 1A0201B0
	buffer_load_dword v24, v22, s[32:35], 0 offen              // 00000000BC34: E0501000 80081816
	buffer_load_dwordx4 a[160:163], v88, s[24:27], 0 offen     // 00000000BC3C: E05C1000 8086A058
	v_mfma_f32_16x16x32_fp8_fp8 v[8:11], a[178:179], a[2:3], v[8:11]// 00000000BC44: D3F30008 1C2205B2
	v_mfma_f32_16x16x32_fp8_fp8 v[8:11], a[180:181], a[4:5], v[8:11]// 00000000BC4C: D3F30008 1C2209B4
	ds_read_b128 a[80:83], v2 offset:20608                     // 00000000BC54: DBFE5080 50000002
	ds_read_b128 a[84:87], v2 offset:20672                     // 00000000BC5C: DBFE50C0 54000002
	v_mfma_f32_16x16x32_fp8_fp8 v[8:11], a[182:183], a[6:7], v[8:11]// 00000000BC64: D3F30008 1C220DB6
	v_mfma_f32_16x16x32_fp8_fp8 v[12:15], a[184:185], a[0:1], 0// 00000000BC6C: D3F3000C 1A0201B8
	buffer_load_dwordx4 a[164:167], v88, s[24:27], 0 offen offset:1024// 00000000BC74: E05C1400 8086A458
	v_mfma_f32_16x16x32_fp8_fp8 v[12:15], a[186:187], a[2:3], v[12:15]// 00000000BC7C: D3F3000C 1C3205BA
	v_mfma_f32_16x16x32_fp8_fp8 v[12:15], a[188:189], a[4:5], v[12:15]// 00000000BC84: D3F3000C 1C3209BC
	ds_read_b128 a[88:91], v2 offset:21120                     // 00000000BC8C: DBFE5280 58000002
	ds_read_b128 a[92:95], v2 offset:21184                     // 00000000BC94: DBFE52C0 5C000002
	v_mfma_f32_16x16x32_fp8_fp8 v[12:15], a[190:191], a[6:7], v[12:15]// 00000000BC9C: D3F3000C 1C320DBE
	v_fma_f32 v172, v8, v4, v172                               // 00000000BCA4: D1CB00AC 06B20908
	v_fma_f32 v173, v9, v4, v173                               // 00000000BCAC: D1CB00AD 06B60909
	v_fma_f32 v174, v10, v4, v174                              // 00000000BCB4: D1CB00AE 06BA090A
	v_fma_f32 v175, v11, v4, v175                              // 00000000BCBC: D1CB00AF 06BE090B
	v_mul_f32_dpp v6, v27, v59 row_newbcast:0 row_mask:0xf bank_mask:0xf// 00000000BCC4: 0A0C76FA FF01501B
	v_mfma_f32_16x16x32_fp8_fp8 v[8:11], a[176:177], a[8:9], 0 // 00000000BCCC: D3F30008 1A0211B0
	buffer_load_dwordx4 a[168:171], v89, s[24:27], 0 offen     // 00000000BCD4: E05C1000 8086A859
	v_mfma_f32_16x16x32_fp8_fp8 v[8:11], a[178:179], a[10:11], v[8:11]// 00000000BCDC: D3F30008 1C2215B2
	v_mfma_f32_16x16x32_fp8_fp8 v[8:11], a[180:181], a[12:13], v[8:11]// 00000000BCE4: D3F30008 1C2219B4
	ds_read_b128 a[96:99], v2 offset:21632                     // 00000000BCEC: DBFE5480 60000002
	ds_read_b128 a[100:103], v2 offset:21696                   // 00000000BCF4: DBFE54C0 64000002
	v_mfma_f32_16x16x32_fp8_fp8 v[8:11], a[182:183], a[14:15], v[8:11]// 00000000BCFC: D3F30008 1C221DB6
	v_fma_f32 v212, v12, v4, v212                              // 00000000BD04: D1CB00D4 0752090C
	v_fma_f32 v213, v13, v4, v213                              // 00000000BD0C: D1CB00D5 0756090D
	v_fma_f32 v214, v14, v4, v214                              // 00000000BD14: D1CB00D6 075A090E
	v_fma_f32 v215, v15, v4, v215                              // 00000000BD1C: D1CB00D7 075E090F
	v_mfma_f32_16x16x32_fp8_fp8 v[12:15], a[184:185], a[8:9], 0// 00000000BD24: D3F3000C 1A0211B8
	buffer_load_dwordx4 a[172:175], v89, s[24:27], 0 offen offset:1024// 00000000BD2C: E05C1400 8086AC59
	v_mfma_f32_16x16x32_fp8_fp8 v[12:15], a[186:187], a[10:11], v[12:15]// 00000000BD34: D3F3000C 1C3215BA
	v_mfma_f32_16x16x32_fp8_fp8 v[12:15], a[188:189], a[12:13], v[12:15]// 00000000BD3C: D3F3000C 1C3219BC
	ds_read_b128 a[104:107], v2 offset:22144                   // 00000000BD44: DBFE5680 68000002
	ds_read_b128 a[108:111], v2 offset:22208                   // 00000000BD4C: DBFE56C0 6C000002
	v_mfma_f32_16x16x32_fp8_fp8 v[12:15], a[190:191], a[14:15], v[12:15]// 00000000BD54: D3F3000C 1C321DBE
	v_fma_f32 v176, v8, v6, v176                               // 00000000BD5C: D1CB00B0 06C20D08
	v_fma_f32 v177, v9, v6, v177                               // 00000000BD64: D1CB00B1 06C60D09
	v_fma_f32 v178, v10, v6, v178                              // 00000000BD6C: D1CB00B2 06CA0D0A
	v_fma_f32 v179, v11, v6, v179                              // 00000000BD74: D1CB00B3 06CE0D0B
	v_mul_f32_dpp v4, v27, v60 row_newbcast:0 row_mask:0xf bank_mask:0xf// 00000000BD7C: 0A0878FA FF01501B
	v_mfma_f32_16x16x32_fp8_fp8 v[8:11], a[176:177], a[16:17], 0// 00000000BD84: D3F30008 1A0221B0
	v_mfma_f32_16x16x32_fp8_fp8 v[8:11], a[178:179], a[18:19], v[8:11]// 00000000BD8C: D3F30008 1C2225B2
	v_mfma_f32_16x16x32_fp8_fp8 v[8:11], a[180:181], a[20:21], v[8:11]// 00000000BD94: D3F30008 1C2229B4
	ds_read_b128 a[112:115], v2 offset:22656                   // 00000000BD9C: DBFE5880 70000002
	ds_read_b128 a[116:119], v2 offset:22720                   // 00000000BDA4: DBFE58C0 74000002
	v_mfma_f32_16x16x32_fp8_fp8 v[8:11], a[182:183], a[22:23], v[8:11]// 00000000BDAC: D3F30008 1C222DB6
	v_fma_f32 v216, v12, v6, v216                              // 00000000BDB4: D1CB00D8 07620D0C
	v_fma_f32 v217, v13, v6, v217                              // 00000000BDBC: D1CB00D9 07660D0D
	v_fma_f32 v218, v14, v6, v218                              // 00000000BDC4: D1CB00DA 076A0D0E
	v_fma_f32 v219, v15, v6, v219                              // 00000000BDCC: D1CB00DB 076E0D0F
	v_mfma_f32_16x16x32_fp8_fp8 v[12:15], a[184:185], a[16:17], 0// 00000000BDD4: D3F3000C 1A0221B8
	v_mfma_f32_16x16x32_fp8_fp8 v[12:15], a[186:187], a[18:19], v[12:15]// 00000000BDDC: D3F3000C 1C3225BA
	v_mfma_f32_16x16x32_fp8_fp8 v[12:15], a[188:189], a[20:21], v[12:15]// 00000000BDE4: D3F3000C 1C3229BC
	ds_read_b128 a[120:123], v2 offset:23168                   // 00000000BDEC: DBFE5A80 78000002
	ds_read_b128 a[124:127], v2 offset:23232                   // 00000000BDF4: DBFE5AC0 7C000002
	v_mfma_f32_16x16x32_fp8_fp8 v[12:15], a[190:191], a[22:23], v[12:15]// 00000000BDFC: D3F3000C 1C322DBE
	v_fma_f32 v180, v8, v4, v180                               // 00000000BE04: D1CB00B4 06D20908
	v_fma_f32 v181, v9, v4, v181                               // 00000000BE0C: D1CB00B5 06D60909
	v_fma_f32 v182, v10, v4, v182                              // 00000000BE14: D1CB00B6 06DA090A
	v_fma_f32 v183, v11, v4, v183                              // 00000000BE1C: D1CB00B7 06DE090B
	v_mul_f32_dpp v6, v27, v61 row_newbcast:0 row_mask:0xf bank_mask:0xf// 00000000BE24: 0A0C7AFA FF01501B
	v_mfma_f32_16x16x32_fp8_fp8 v[8:11], a[176:177], a[24:25], 0// 00000000BE2C: D3F30008 1A0231B0
	v_mfma_f32_16x16x32_fp8_fp8 v[8:11], a[178:179], a[26:27], v[8:11]// 00000000BE34: D3F30008 1C2235B2
	v_mfma_f32_16x16x32_fp8_fp8 v[8:11], a[180:181], a[28:29], v[8:11]// 00000000BE3C: D3F30008 1C2239B4
	ds_read_b128 a[128:131], v2 offset:23680                   // 00000000BE44: DBFE5C80 80000002
	ds_read_b128 a[132:135], v2 offset:23744                   // 00000000BE4C: DBFE5CC0 84000002
	v_mfma_f32_16x16x32_fp8_fp8 v[8:11], a[182:183], a[30:31], v[8:11]// 00000000BE54: D3F30008 1C223DB6
	v_fma_f32 v220, v12, v4, v220                              // 00000000BE5C: D1CB00DC 0772090C
	v_fma_f32 v221, v13, v4, v221                              // 00000000BE64: D1CB00DD 0776090D
	v_fma_f32 v222, v14, v4, v222                              // 00000000BE6C: D1CB00DE 077A090E
	v_fma_f32 v223, v15, v4, v223                              // 00000000BE74: D1CB00DF 077E090F
	v_mfma_f32_16x16x32_fp8_fp8 v[12:15], a[184:185], a[24:25], 0// 00000000BE7C: D3F3000C 1A0231B8
	v_mfma_f32_16x16x32_fp8_fp8 v[12:15], a[186:187], a[26:27], v[12:15]// 00000000BE84: D3F3000C 1C3235BA
	v_mfma_f32_16x16x32_fp8_fp8 v[12:15], a[188:189], a[28:29], v[12:15]// 00000000BE8C: D3F3000C 1C3239BC
	ds_read_b128 a[136:139], v2 offset:24192                   // 00000000BE94: DBFE5E80 88000002
	ds_read_b128 a[140:143], v2 offset:24256                   // 00000000BE9C: DBFE5EC0 8C000002
	v_mfma_f32_16x16x32_fp8_fp8 v[12:15], a[190:191], a[30:31], v[12:15]// 00000000BEA4: D3F3000C 1C323DBE
	v_fma_f32 v184, v8, v6, v184                               // 00000000BEAC: D1CB00B8 06E20D08
	v_fma_f32 v185, v9, v6, v185                               // 00000000BEB4: D1CB00B9 06E60D09
	v_fma_f32 v186, v10, v6, v186                              // 00000000BEBC: D1CB00BA 06EA0D0A
	v_fma_f32 v187, v11, v6, v187                              // 00000000BEC4: D1CB00BB 06EE0D0B
	v_mul_f32_dpp v4, v27, v62 row_newbcast:0 row_mask:0xf bank_mask:0xf// 00000000BECC: 0A087CFA FF01501B
	v_mfma_f32_16x16x32_fp8_fp8 v[8:11], a[176:177], a[32:33], 0// 00000000BED4: D3F30008 1A0241B0
	v_mfma_f32_16x16x32_fp8_fp8 v[8:11], a[178:179], a[34:35], v[8:11]// 00000000BEDC: D3F30008 1C2245B2
	v_mfma_f32_16x16x32_fp8_fp8 v[8:11], a[180:181], a[36:37], v[8:11]// 00000000BEE4: D3F30008 1C2249B4
	ds_read_b128 a[144:147], v2 offset:24704                   // 00000000BEEC: DBFE6080 90000002
	ds_read_b128 a[148:151], v2 offset:24768                   // 00000000BEF4: DBFE60C0 94000002
	v_mfma_f32_16x16x32_fp8_fp8 v[8:11], a[182:183], a[38:39], v[8:11]// 00000000BEFC: D3F30008 1C224DB6
	v_fma_f32 v224, v12, v6, v224                              // 00000000BF04: D1CB00E0 07820D0C
	v_fma_f32 v225, v13, v6, v225                              // 00000000BF0C: D1CB00E1 07860D0D
	v_fma_f32 v226, v14, v6, v226                              // 00000000BF14: D1CB00E2 078A0D0E
	v_fma_f32 v227, v15, v6, v227                              // 00000000BF1C: D1CB00E3 078E0D0F
	v_mfma_f32_16x16x32_fp8_fp8 v[12:15], a[184:185], a[32:33], 0// 00000000BF24: D3F3000C 1A0241B8
	v_mfma_f32_16x16x32_fp8_fp8 v[12:15], a[186:187], a[34:35], v[12:15]// 00000000BF2C: D3F3000C 1C3245BA
	v_mfma_f32_16x16x32_fp8_fp8 v[12:15], a[188:189], a[36:37], v[12:15]// 00000000BF34: D3F3000C 1C3249BC
	ds_read_b128 a[152:155], v2 offset:25216                   // 00000000BF3C: DBFE6280 98000002
	ds_read_b128 a[156:159], v2 offset:25280                   // 00000000BF44: DBFE62C0 9C000002
	v_mfma_f32_16x16x32_fp8_fp8 v[12:15], a[190:191], a[38:39], v[12:15]// 00000000BF4C: D3F3000C 1C324DBE
	v_fma_f32 v188, v8, v4, v188                               // 00000000BF54: D1CB00BC 06F20908
	v_fma_f32 v189, v9, v4, v189                               // 00000000BF5C: D1CB00BD 06F60909
	v_fma_f32 v190, v10, v4, v190                              // 00000000BF64: D1CB00BE 06FA090A
	v_fma_f32 v191, v11, v4, v191                              // 00000000BF6C: D1CB00BF 06FE090B
	v_mul_f32_dpp v6, v27, v63 row_newbcast:0 row_mask:0xf bank_mask:0xf// 00000000BF74: 0A0C7EFA FF01501B
	v_mfma_f32_16x16x32_fp8_fp8 v[8:11], a[176:177], a[40:41], 0// 00000000BF7C: D3F30008 1A0251B0
	v_mfma_f32_16x16x32_fp8_fp8 v[8:11], a[178:179], a[42:43], v[8:11]// 00000000BF84: D3F30008 1C2255B2
	v_mfma_f32_16x16x32_fp8_fp8 v[8:11], a[180:181], a[44:45], v[8:11]// 00000000BF8C: D3F30008 1C2259B4
	v_mfma_f32_16x16x32_fp8_fp8 v[8:11], a[182:183], a[46:47], v[8:11]// 00000000BF94: D3F30008 1C225DB6
	v_fma_f32 v228, v12, v4, v228                              // 00000000BF9C: D1CB00E4 0792090C
	v_fma_f32 v229, v13, v4, v229                              // 00000000BFA4: D1CB00E5 0796090D
	v_fma_f32 v230, v14, v4, v230                              // 00000000BFAC: D1CB00E6 079A090E
	v_fma_f32 v231, v15, v4, v231                              // 00000000BFB4: D1CB00E7 079E090F
	v_mfma_f32_16x16x32_fp8_fp8 v[12:15], a[184:185], a[40:41], 0// 00000000BFBC: D3F3000C 1A0251B8
	v_mfma_f32_16x16x32_fp8_fp8 v[12:15], a[186:187], a[42:43], v[12:15]// 00000000BFC4: D3F3000C 1C3255BA
	v_mfma_f32_16x16x32_fp8_fp8 v[12:15], a[188:189], a[44:45], v[12:15]// 00000000BFCC: D3F3000C 1C3259BC
	v_mfma_f32_16x16x32_fp8_fp8 v[12:15], a[190:191], a[46:47], v[12:15]// 00000000BFD4: D3F3000C 1C325DBE
	v_fma_f32 v192, v8, v6, v192                               // 00000000BFDC: D1CB00C0 07020D08
	v_fma_f32 v193, v9, v6, v193                               // 00000000BFE4: D1CB00C1 07060D09
	v_fma_f32 v194, v10, v6, v194                              // 00000000BFEC: D1CB00C2 070A0D0A
	v_fma_f32 v195, v11, v6, v195                              // 00000000BFF4: D1CB00C3 070E0D0B
	v_mul_f32_dpp v4, v27, v64 row_newbcast:0 row_mask:0xf bank_mask:0xf// 00000000BFFC: 0A0880FA FF01501B
	v_mfma_f32_16x16x32_fp8_fp8 v[8:11], a[176:177], a[48:49], 0// 00000000C004: D3F30008 1A0261B0
	v_mfma_f32_16x16x32_fp8_fp8 v[8:11], a[178:179], a[50:51], v[8:11]// 00000000C00C: D3F30008 1C2265B2
	v_mfma_f32_16x16x32_fp8_fp8 v[8:11], a[180:181], a[52:53], v[8:11]// 00000000C014: D3F30008 1C2269B4
	v_mfma_f32_16x16x32_fp8_fp8 v[8:11], a[182:183], a[54:55], v[8:11]// 00000000C01C: D3F30008 1C226DB6
	v_fma_f32 v232, v12, v6, v232                              // 00000000C024: D1CB00E8 07A20D0C
	v_fma_f32 v233, v13, v6, v233                              // 00000000C02C: D1CB00E9 07A60D0D
	v_fma_f32 v234, v14, v6, v234                              // 00000000C034: D1CB00EA 07AA0D0E
	v_fma_f32 v235, v15, v6, v235                              // 00000000C03C: D1CB00EB 07AE0D0F
	v_mfma_f32_16x16x32_fp8_fp8 v[12:15], a[184:185], a[48:49], 0// 00000000C044: D3F3000C 1A0261B8
	v_mfma_f32_16x16x32_fp8_fp8 v[12:15], a[186:187], a[50:51], v[12:15]// 00000000C04C: D3F3000C 1C3265BA
	v_mfma_f32_16x16x32_fp8_fp8 v[12:15], a[188:189], a[52:53], v[12:15]// 00000000C054: D3F3000C 1C3269BC
	v_mfma_f32_16x16x32_fp8_fp8 v[12:15], a[190:191], a[54:55], v[12:15]// 00000000C05C: D3F3000C 1C326DBE
	v_fma_f32 v196, v8, v4, v196                               // 00000000C064: D1CB00C4 07120908
	v_fma_f32 v197, v9, v4, v197                               // 00000000C06C: D1CB00C5 07160909
	v_fma_f32 v198, v10, v4, v198                              // 00000000C074: D1CB00C6 071A090A
	v_fma_f32 v199, v11, v4, v199                              // 00000000C07C: D1CB00C7 071E090B
	v_mul_f32_dpp v6, v27, v65 row_newbcast:0 row_mask:0xf bank_mask:0xf// 00000000C084: 0A0C82FA FF01501B
	v_mfma_f32_16x16x32_fp8_fp8 v[8:11], a[176:177], a[56:57], 0// 00000000C08C: D3F30008 1A0271B0
	v_mfma_f32_16x16x32_fp8_fp8 v[8:11], a[178:179], a[58:59], v[8:11]// 00000000C094: D3F30008 1C2275B2
	v_mfma_f32_16x16x32_fp8_fp8 v[8:11], a[180:181], a[60:61], v[8:11]// 00000000C09C: D3F30008 1C2279B4
	v_mfma_f32_16x16x32_fp8_fp8 v[8:11], a[182:183], a[62:63], v[8:11]// 00000000C0A4: D3F30008 1C227DB6
	v_fma_f32 v236, v12, v4, v236                              // 00000000C0AC: D1CB00EC 07B2090C
	v_fma_f32 v237, v13, v4, v237                              // 00000000C0B4: D1CB00ED 07B6090D
	v_fma_f32 v238, v14, v4, v238                              // 00000000C0BC: D1CB00EE 07BA090E
	v_fma_f32 v239, v15, v4, v239                              // 00000000C0C4: D1CB00EF 07BE090F
	v_mfma_f32_16x16x32_fp8_fp8 v[12:15], a[184:185], a[56:57], 0// 00000000C0CC: D3F3000C 1A0271B8
	v_mfma_f32_16x16x32_fp8_fp8 v[12:15], a[186:187], a[58:59], v[12:15]// 00000000C0D4: D3F3000C 1C3275BA
	v_mfma_f32_16x16x32_fp8_fp8 v[12:15], a[188:189], a[60:61], v[12:15]// 00000000C0DC: D3F3000C 1C3279BC
	v_mfma_f32_16x16x32_fp8_fp8 v[12:15], a[190:191], a[62:63], v[12:15]// 00000000C0E4: D3F3000C 1C327DBE
	v_fma_f32 v200, v8, v6, v200                               // 00000000C0EC: D1CB00C8 07220D08
	v_fma_f32 v201, v9, v6, v201                               // 00000000C0F4: D1CB00C9 07260D09
	v_fma_f32 v202, v10, v6, v202                              // 00000000C0FC: D1CB00CA 072A0D0A
	v_fma_f32 v203, v11, v6, v203                              // 00000000C104: D1CB00CB 072E0D0B
	v_mul_f32_dpp v4, v27, v66 row_newbcast:0 row_mask:0xf bank_mask:0xf// 00000000C10C: 0A0884FA FF01501B
	v_mfma_f32_16x16x32_fp8_fp8 v[8:11], a[176:177], a[64:65], 0// 00000000C114: D3F30008 1A0281B0
	v_mfma_f32_16x16x32_fp8_fp8 v[8:11], a[178:179], a[66:67], v[8:11]// 00000000C11C: D3F30008 1C2285B2
	v_mfma_f32_16x16x32_fp8_fp8 v[8:11], a[180:181], a[68:69], v[8:11]// 00000000C124: D3F30008 1C2289B4
	v_mfma_f32_16x16x32_fp8_fp8 v[8:11], a[182:183], a[70:71], v[8:11]// 00000000C12C: D3F30008 1C228DB6
	v_fma_f32 v240, v12, v6, v240                              // 00000000C134: D1CB00F0 07C20D0C
	v_fma_f32 v241, v13, v6, v241                              // 00000000C13C: D1CB00F1 07C60D0D
	v_fma_f32 v242, v14, v6, v242                              // 00000000C144: D1CB00F2 07CA0D0E
	v_fma_f32 v243, v15, v6, v243                              // 00000000C14C: D1CB00F3 07CE0D0F
	v_mfma_f32_16x16x32_fp8_fp8 v[12:15], a[184:185], a[64:65], 0// 00000000C154: D3F3000C 1A0281B8
	v_mfma_f32_16x16x32_fp8_fp8 v[12:15], a[186:187], a[66:67], v[12:15]// 00000000C15C: D3F3000C 1C3285BA
	v_mfma_f32_16x16x32_fp8_fp8 v[12:15], a[188:189], a[68:69], v[12:15]// 00000000C164: D3F3000C 1C3289BC
	v_mfma_f32_16x16x32_fp8_fp8 v[12:15], a[190:191], a[70:71], v[12:15]// 00000000C16C: D3F3000C 1C328DBE
	v_fma_f32 v204, v8, v4, v204                               // 00000000C174: D1CB00CC 07320908
	v_fma_f32 v205, v9, v4, v205                               // 00000000C17C: D1CB00CD 07360909
	v_fma_f32 v206, v10, v4, v206                              // 00000000C184: D1CB00CE 073A090A
	v_fma_f32 v207, v11, v4, v207                              // 00000000C18C: D1CB00CF 073E090B
	v_mul_f32_dpp v6, v27, v67 row_newbcast:0 row_mask:0xf bank_mask:0xf// 00000000C194: 0A0C86FA FF01501B
	v_mfma_f32_16x16x32_fp8_fp8 v[8:11], a[176:177], a[72:73], 0// 00000000C19C: D3F30008 1A0291B0
	v_mfma_f32_16x16x32_fp8_fp8 v[8:11], a[178:179], a[74:75], v[8:11]// 00000000C1A4: D3F30008 1C2295B2
	v_mfma_f32_16x16x32_fp8_fp8 v[8:11], a[180:181], a[76:77], v[8:11]// 00000000C1AC: D3F30008 1C2299B4
	s_add_u32 s60, 0x180, s80                                  // 00000000C1B4: 803C50FF 00000180
	s_cmp_lt_u32 s60, s81                                      // 00000000C1BC: BF0A513C
	s_cselect_b32 s57, s57, 0                                  // 00000000C1C0: 85398039
	s_cselect_b32 s3, s3, 0                                    // 00000000C1C4: 85038003
	v_mfma_f32_16x16x32_fp8_fp8 v[8:11], a[182:183], a[78:79], v[8:11]// 00000000C1C8: D3F30008 1C229DB6
	s_add_u32 s60, 0x100, s80                                  // 00000000C1D0: 803C50FF 00000100
	s_cmp_lt_u32 s60, s81                                      // 00000000C1D8: BF0A513C
	s_cselect_b32 s58, s58, 0                                  // 00000000C1DC: 853A803A
	v_fma_f32 v244, v12, v4, v244                              // 00000000C1E0: D1CB00F4 07D2090C
	v_fma_f32 v245, v13, v4, v245                              // 00000000C1E8: D1CB00F5 07D6090D
	v_fma_f32 v246, v14, v4, v246                              // 00000000C1F0: D1CB00F6 07DA090E
	v_fma_f32 v247, v15, v4, v247                              // 00000000C1F8: D1CB00F7 07DE090F
	v_mfma_f32_16x16x32_fp8_fp8 v[12:15], a[184:185], a[72:73], 0// 00000000C200: D3F3000C 1A0291B8
	s_add_u32 s24, s58, s24                                    // 00000000C208: 8018183A
	s_addc_u32 s25, 0, s25                                     // 00000000C20C: 82191980
	v_mfma_f32_16x16x32_fp8_fp8 v[12:15], a[186:187], a[74:75], v[12:15]// 00000000C210: D3F3000C 1C3295BA
	s_add_u32 s20, s57, s20                                    // 00000000C218: 80141439
	s_addc_u32 s21, 0, s21                                     // 00000000C21C: 82151580
	s_add_u32 s28, s3, s28                                     // 00000000C220: 801C1C03
	s_addc_u32 s29, 0, s29                                     // 00000000C224: 821D1D80
	v_mfma_f32_16x16x32_fp8_fp8 v[12:15], a[188:189], a[76:77], v[12:15]// 00000000C228: D3F3000C 1C3299BC
	s_add_u32 s84, s83, s84                                    // 00000000C230: 80545453
	s_addc_u32 s85, 0, s85                                     // 00000000C234: 82555580
	v_mfma_f32_16x16x32_fp8_fp8 v[12:15], a[190:191], a[78:79], v[12:15]// 00000000C238: D3F3000C 1C329DBE
	v_fma_f32 v208, v8, v6, v208                               // 00000000C240: D1CB00D0 07420D08
	v_fma_f32 v209, v9, v6, v209                               // 00000000C248: D1CB00D1 07460D09
	v_fma_f32 v210, v10, v6, v210                              // 00000000C250: D1CB00D2 074A0D0A
	v_fma_f32 v211, v11, v6, v211                              // 00000000C258: D1CB00D3 074E0D0B
	v_fma_f32 v248, v12, v6, v248                              // 00000000C260: D1CB00F8 07E20D0C
	v_fma_f32 v249, v13, v6, v249                              // 00000000C268: D1CB00F9 07E60D0D
	v_fma_f32 v250, v14, v6, v250                              // 00000000C270: D1CB00FA 07EA0D0E
	v_fma_f32 v251, v15, v6, v251                              // 00000000C278: D1CB00FB 07EE0D0F
	s_addk_i32 s80, 0x80                                       // 00000000C280: B7500080
	s_cmp_lt_i32 s80, s81                                      // 00000000C284: BF045150
	s_cbranch_scc0 label_29AB                                  // 00000000C288: BF840385
	s_waitcnt vmcnt(2) lgkmcnt(0)                              // 00000000C28C: BF8C0072
	s_barrier                                                  // 00000000C290: BF8A0000
	v_mov_b32_e32 v58, v48                                     // 00000000C294: 7E740330
	v_mov_b32_e32 v59, v49                                     // 00000000C298: 7E760331
	v_mov_b32_e32 v60, v50                                     // 00000000C29C: 7E780332
	v_mov_b32_e32 v61, v51                                     // 00000000C2A0: 7E7A0333
	v_mov_b32_e32 v62, v52                                     // 00000000C2A4: 7E7C0334
	v_mov_b32_e32 v63, v53                                     // 00000000C2A8: 7E7E0335
	v_mov_b32_e32 v64, v54                                     // 00000000C2AC: 7E800336
	v_mov_b32_e32 v65, v55                                     // 00000000C2B0: 7E820337
	v_mov_b32_e32 v66, v56                                     // 00000000C2B4: 7E840338
	v_mov_b32_e32 v67, v57                                     // 00000000C2B8: 7E860339
	v_mul_f32_dpp v4, v24, v58 row_newbcast:0 row_mask:0xf bank_mask:0xf// 00000000C2BC: 0A0874FA FF015018
	v_mfma_f32_16x16x32_fp8_fp8 v[8:11], a[160:161], a[80:81], 0// 00000000C2C4: D3F30008 1A02A1A0
	buffer_load_dword v27, v23, s[32:35], 0 offen              // 00000000C2CC: E0501000 80081B17
	buffer_load_dwordx4 a[176:179], v88, s[84:87], 0 offen     // 00000000C2D4: E05C1000 8095B058
	v_mfma_f32_16x16x32_fp8_fp8 v[8:11], a[162:163], a[82:83], v[8:11]// 00000000C2DC: D3F30008 1C22A5A2
	v_mfma_f32_16x16x32_fp8_fp8 v[8:11], a[164:165], a[84:85], v[8:11]// 00000000C2E4: D3F30008 1C22A9A4
	v_mfma_f32_16x16x32_fp8_fp8 v[8:11], a[166:167], a[86:87], v[8:11]// 00000000C2EC: D3F30008 1C22ADA6
	v_mul_f32_dpp v6, v24, v59 row_newbcast:0 row_mask:0xf bank_mask:0xf// 00000000C2F4: 0A0C76FA FF015018
	v_mfma_f32_16x16x32_fp8_fp8 v[12:15], a[160:161], a[88:89], 0// 00000000C2FC: D3F3000C 1A02B1A0
	buffer_load_dwordx4 a[180:183], v88, s[84:87], 0 offen offset:1024// 00000000C304: E05C1400 8095B458
	v_mfma_f32_16x16x32_fp8_fp8 v[12:15], a[162:163], a[90:91], v[12:15]// 00000000C30C: D3F3000C 1C32B5A2
	v_mfma_f32_16x16x32_fp8_fp8 v[12:15], a[164:165], a[92:93], v[12:15]// 00000000C314: D3F3000C 1C32B9A4
	v_mfma_f32_16x16x32_fp8_fp8 v[12:15], a[166:167], a[94:95], v[12:15]// 00000000C31C: D3F3000C 1C32BDA6
	v_fma_f32 v92, v8, v4, v92                                 // 00000000C324: D1CB005C 05720908
	v_fma_f32 v93, v9, v4, v93                                 // 00000000C32C: D1CB005D 05760909
	v_fma_f32 v94, v10, v4, v94                                // 00000000C334: D1CB005E 057A090A
	v_fma_f32 v95, v11, v4, v95                                // 00000000C33C: D1CB005F 057E090B
	v_mul_f32_dpp v4, v24, v60 row_newbcast:0 row_mask:0xf bank_mask:0xf// 00000000C344: 0A0878FA FF015018
	v_mfma_f32_16x16x32_fp8_fp8 v[8:11], a[160:161], a[96:97], 0// 00000000C34C: D3F30008 1A02C1A0
	buffer_load_dwordx4 a[184:187], v89, s[84:87], 0 offen     // 00000000C354: E05C1000 8095B859
	v_mfma_f32_16x16x32_fp8_fp8 v[8:11], a[162:163], a[98:99], v[8:11]// 00000000C35C: D3F30008 1C22C5A2
	v_mfma_f32_16x16x32_fp8_fp8 v[8:11], a[164:165], a[100:101], v[8:11]// 00000000C364: D3F30008 1C22C9A4
	v_mfma_f32_16x16x32_fp8_fp8 v[8:11], a[166:167], a[102:103], v[8:11]// 00000000C36C: D3F30008 1C22CDA6
	v_fma_f32 v96, v12, v6, v96                                // 00000000C374: D1CB0060 05820D0C
	v_fma_f32 v97, v13, v6, v97                                // 00000000C37C: D1CB0061 05860D0D
	v_fma_f32 v98, v14, v6, v98                                // 00000000C384: D1CB0062 058A0D0E
	v_fma_f32 v99, v15, v6, v99                                // 00000000C38C: D1CB0063 058E0D0F
	v_mul_f32_dpp v6, v24, v61 row_newbcast:0 row_mask:0xf bank_mask:0xf// 00000000C394: 0A0C7AFA FF015018
	v_mfma_f32_16x16x32_fp8_fp8 v[12:15], a[160:161], a[104:105], 0// 00000000C39C: D3F3000C 1A02D1A0
	buffer_load_dwordx4 a[188:191], v89, s[84:87], 0 offen offset:1024// 00000000C3A4: E05C1400 8095BC59
	buffer_load_dword v68, s[20:23], 0 offen lds               // 00000000C3AC: E0511000 80050044
	s_add_u32 m0, 0x100, s49                                   // 00000000C3B4: 807C31FF 00000100
	v_mfma_f32_16x16x32_fp8_fp8 v[12:15], a[162:163], a[106:107], v[12:15]// 00000000C3BC: D3F3000C 1C32D5A2
	v_mfma_f32_16x16x32_fp8_fp8 v[12:15], a[164:165], a[108:109], v[12:15]// 00000000C3C4: D3F3000C 1C32D9A4
	buffer_load_dword v69, s[20:23], 0 offen lds               // 00000000C3CC: E0511000 80050045
	s_add_u32 m0, 0x200, s49                                   // 00000000C3D4: 807C31FF 00000200
	v_mfma_f32_16x16x32_fp8_fp8 v[12:15], a[166:167], a[110:111], v[12:15]// 00000000C3DC: D3F3000C 1C32DDA6
	v_fma_f32 v100, v8, v4, v100                               // 00000000C3E4: D1CB0064 05920908
	v_fma_f32 v101, v9, v4, v101                               // 00000000C3EC: D1CB0065 05960909
	v_fma_f32 v102, v10, v4, v102                              // 00000000C3F4: D1CB0066 059A090A
	v_fma_f32 v103, v11, v4, v103                              // 00000000C3FC: D1CB0067 059E090B
	v_mul_f32_dpp v4, v24, v62 row_newbcast:0 row_mask:0xf bank_mask:0xf// 00000000C404: 0A087CFA FF015018
	v_mfma_f32_16x16x32_fp8_fp8 v[8:11], a[160:161], a[112:113], 0// 00000000C40C: D3F30008 1A02E1A0
	buffer_load_dword v70, s[20:23], 0 offen lds               // 00000000C414: E0511000 80050046
	s_add_u32 m0, 0x300, s49                                   // 00000000C41C: 807C31FF 00000300
	v_mfma_f32_16x16x32_fp8_fp8 v[8:11], a[162:163], a[114:115], v[8:11]// 00000000C424: D3F30008 1C22E5A2
	v_mfma_f32_16x16x32_fp8_fp8 v[8:11], a[164:165], a[116:117], v[8:11]// 00000000C42C: D3F30008 1C22E9A4
	buffer_load_dword v71, s[20:23], 0 offen lds               // 00000000C434: E0511000 80050047
	s_add_u32 m0, 0x400, s49                                   // 00000000C43C: 807C31FF 00000400
	v_mfma_f32_16x16x32_fp8_fp8 v[8:11], a[166:167], a[118:119], v[8:11]// 00000000C444: D3F30008 1C22EDA6
	v_fma_f32 v104, v12, v6, v104                              // 00000000C44C: D1CB0068 05A20D0C
	v_fma_f32 v105, v13, v6, v105                              // 00000000C454: D1CB0069 05A60D0D
	v_fma_f32 v106, v14, v6, v106                              // 00000000C45C: D1CB006A 05AA0D0E
	v_fma_f32 v107, v15, v6, v107                              // 00000000C464: D1CB006B 05AE0D0F
	v_mul_f32_dpp v6, v24, v63 row_newbcast:0 row_mask:0xf bank_mask:0xf// 00000000C46C: 0A0C7EFA FF015018
	v_mfma_f32_16x16x32_fp8_fp8 v[12:15], a[160:161], a[120:121], 0// 00000000C474: D3F3000C 1A02F1A0
	buffer_load_dword v72, s[20:23], 0 offen lds               // 00000000C47C: E0511000 80050048
	s_add_u32 m0, 0x500, s49                                   // 00000000C484: 807C31FF 00000500
	v_mfma_f32_16x16x32_fp8_fp8 v[12:15], a[162:163], a[122:123], v[12:15]// 00000000C48C: D3F3000C 1C32F5A2
	v_mfma_f32_16x16x32_fp8_fp8 v[12:15], a[164:165], a[124:125], v[12:15]// 00000000C494: D3F3000C 1C32F9A4
	buffer_load_dword v73, s[20:23], 0 offen lds               // 00000000C49C: E0511000 80050049
	s_add_u32 m0, 0x600, s49                                   // 00000000C4A4: 807C31FF 00000600
	v_mfma_f32_16x16x32_fp8_fp8 v[12:15], a[166:167], a[126:127], v[12:15]// 00000000C4AC: D3F3000C 1C32FDA6
	v_fma_f32 v108, v8, v4, v108                               // 00000000C4B4: D1CB006C 05B20908
	v_fma_f32 v109, v9, v4, v109                               // 00000000C4BC: D1CB006D 05B60909
	v_fma_f32 v110, v10, v4, v110                              // 00000000C4C4: D1CB006E 05BA090A
	v_fma_f32 v111, v11, v4, v111                              // 00000000C4CC: D1CB006F 05BE090B
	v_mul_f32_dpp v4, v24, v64 row_newbcast:0 row_mask:0xf bank_mask:0xf// 00000000C4D4: 0A0880FA FF015018
	v_mfma_f32_16x16x32_fp8_fp8 v[8:11], a[160:161], a[128:129], 0// 00000000C4DC: D3F30008 1A0301A0
	buffer_load_dword v74, s[20:23], 0 offen lds               // 00000000C4E4: E0511000 8005004A
	s_add_u32 m0, 0x700, s49                                   // 00000000C4EC: 807C31FF 00000700
	v_mfma_f32_16x16x32_fp8_fp8 v[8:11], a[162:163], a[130:131], v[8:11]// 00000000C4F4: D3F30008 1C2305A2
	v_mfma_f32_16x16x32_fp8_fp8 v[8:11], a[164:165], a[132:133], v[8:11]// 00000000C4FC: D3F30008 1C2309A4
	buffer_load_dword v75, s[20:23], 0 offen lds               // 00000000C504: E0511000 8005004B
	s_add_u32 m0, 0x800, s49                                   // 00000000C50C: 807C31FF 00000800
	v_mfma_f32_16x16x32_fp8_fp8 v[8:11], a[166:167], a[134:135], v[8:11]// 00000000C514: D3F30008 1C230DA6
	v_fma_f32 v112, v12, v6, v112                              // 00000000C51C: D1CB0070 05C20D0C
	v_fma_f32 v113, v13, v6, v113                              // 00000000C524: D1CB0071 05C60D0D
	v_fma_f32 v114, v14, v6, v114                              // 00000000C52C: D1CB0072 05CA0D0E
	v_fma_f32 v115, v15, v6, v115                              // 00000000C534: D1CB0073 05CE0D0F
	v_mul_f32_dpp v6, v24, v65 row_newbcast:0 row_mask:0xf bank_mask:0xf// 00000000C53C: 0A0C82FA FF015018
	v_mfma_f32_16x16x32_fp8_fp8 v[12:15], a[160:161], a[136:137], 0// 00000000C544: D3F3000C 1A0311A0
	buffer_load_dword v76, s[20:23], 0 offen lds               // 00000000C54C: E0511000 8005004C
	s_add_u32 m0, 0x900, s49                                   // 00000000C554: 807C31FF 00000900
	v_mfma_f32_16x16x32_fp8_fp8 v[12:15], a[162:163], a[138:139], v[12:15]// 00000000C55C: D3F3000C 1C3315A2
	v_mfma_f32_16x16x32_fp8_fp8 v[12:15], a[164:165], a[140:141], v[12:15]// 00000000C564: D3F3000C 1C3319A4
	buffer_load_dword v77, s[20:23], 0 offen lds               // 00000000C56C: E0511000 8005004D
	s_add_u32 m0, 0xa00, s49                                   // 00000000C574: 807C31FF 00000A00
	v_mfma_f32_16x16x32_fp8_fp8 v[12:15], a[166:167], a[142:143], v[12:15]// 00000000C57C: D3F3000C 1C331DA6
	v_fma_f32 v116, v8, v4, v116                               // 00000000C584: D1CB0074 05D20908
	v_fma_f32 v117, v9, v4, v117                               // 00000000C58C: D1CB0075 05D60909
	v_fma_f32 v118, v10, v4, v118                              // 00000000C594: D1CB0076 05DA090A
	v_fma_f32 v119, v11, v4, v119                              // 00000000C59C: D1CB0077 05DE090B
	v_mul_f32_dpp v4, v24, v66 row_newbcast:0 row_mask:0xf bank_mask:0xf// 00000000C5A4: 0A0884FA FF015018
	v_mfma_f32_16x16x32_fp8_fp8 v[8:11], a[160:161], a[144:145], 0// 00000000C5AC: D3F30008 1A0321A0
	buffer_load_dword v78, s[20:23], 0 offen lds               // 00000000C5B4: E0511000 8005004E
	s_add_u32 m0, 0xb00, s49                                   // 00000000C5BC: 807C31FF 00000B00
	v_mfma_f32_16x16x32_fp8_fp8 v[8:11], a[162:163], a[146:147], v[8:11]// 00000000C5C4: D3F30008 1C2325A2
	v_mfma_f32_16x16x32_fp8_fp8 v[8:11], a[164:165], a[148:149], v[8:11]// 00000000C5CC: D3F30008 1C2329A4
	buffer_load_dword v79, s[20:23], 0 offen lds               // 00000000C5D4: E0511000 8005004F
	s_add_u32 m0, 0xc00, s49                                   // 00000000C5DC: 807C31FF 00000C00
	v_mfma_f32_16x16x32_fp8_fp8 v[8:11], a[166:167], a[150:151], v[8:11]// 00000000C5E4: D3F30008 1C232DA6
	v_fma_f32 v120, v12, v6, v120                              // 00000000C5EC: D1CB0078 05E20D0C
	v_fma_f32 v121, v13, v6, v121                              // 00000000C5F4: D1CB0079 05E60D0D
	v_fma_f32 v122, v14, v6, v122                              // 00000000C5FC: D1CB007A 05EA0D0E
	v_fma_f32 v123, v15, v6, v123                              // 00000000C604: D1CB007B 05EE0D0F
	v_mul_f32_dpp v6, v24, v67 row_newbcast:0 row_mask:0xf bank_mask:0xf// 00000000C60C: 0A0C86FA FF015018
	v_mfma_f32_16x16x32_fp8_fp8 v[12:15], a[160:161], a[152:153], 0// 00000000C614: D3F3000C 1A0331A0
	buffer_load_dword v80, s[20:23], 0 offen lds               // 00000000C61C: E0511000 80050050
	s_add_u32 m0, 0xd00, s49                                   // 00000000C624: 807C31FF 00000D00
	v_mfma_f32_16x16x32_fp8_fp8 v[12:15], a[162:163], a[154:155], v[12:15]// 00000000C62C: D3F3000C 1C3335A2
	v_mfma_f32_16x16x32_fp8_fp8 v[12:15], a[164:165], a[156:157], v[12:15]// 00000000C634: D3F3000C 1C3339A4
	buffer_load_dword v81, s[20:23], 0 offen lds               // 00000000C63C: E0511000 80050051
	s_add_u32 m0, 0xe00, s49                                   // 00000000C644: 807C31FF 00000E00
	v_mfma_f32_16x16x32_fp8_fp8 v[12:15], a[166:167], a[158:159], v[12:15]// 00000000C64C: D3F3000C 1C333DA6
	v_fma_f32 v124, v8, v4, v124                               // 00000000C654: D1CB007C 05F20908
	v_fma_f32 v125, v9, v4, v125                               // 00000000C65C: D1CB007D 05F60909
	v_fma_f32 v126, v10, v4, v126                              // 00000000C664: D1CB007E 05FA090A
	v_fma_f32 v127, v11, v4, v127                              // 00000000C66C: D1CB007F 05FE090B
	s_waitcnt vmcnt(19)                                        // 00000000C674: BF8C4F73
	v_mul_f32_dpp v4, v24, v58 row_newbcast:0 row_mask:0xf bank_mask:0xf// 00000000C678: 0A0874FA FF015018
	v_mfma_f32_16x16x32_fp8_fp8 v[8:11], a[168:169], a[80:81], 0// 00000000C680: D3F30008 1A02A1A8
	buffer_load_dword v82, s[20:23], 0 offen lds               // 00000000C688: E0511000 80050052
	s_add_u32 m0, 0xf00, s49                                   // 00000000C690: 807C31FF 00000F00
	v_mfma_f32_16x16x32_fp8_fp8 v[8:11], a[170:171], a[82:83], v[8:11]// 00000000C698: D3F30008 1C22A5AA
	v_mfma_f32_16x16x32_fp8_fp8 v[8:11], a[172:173], a[84:85], v[8:11]// 00000000C6A0: D3F30008 1C22A9AC
	buffer_load_dword v83, s[20:23], 0 offen lds               // 00000000C6A8: E0511000 80050053
	s_add_u32 m0, 0x1000, s49                                  // 00000000C6B0: 807C31FF 00001000
	v_mfma_f32_16x16x32_fp8_fp8 v[8:11], a[174:175], a[86:87], v[8:11]// 00000000C6B8: D3F30008 1C22ADAE
	v_fma_f32 v128, v12, v6, v128                              // 00000000C6C0: D1CB0080 06020D0C
	v_fma_f32 v129, v13, v6, v129                              // 00000000C6C8: D1CB0081 06060D0D
	v_fma_f32 v130, v14, v6, v130                              // 00000000C6D0: D1CB0082 060A0D0E
	v_fma_f32 v131, v15, v6, v131                              // 00000000C6D8: D1CB0083 060E0D0F
	v_mul_f32_dpp v6, v24, v59 row_newbcast:0 row_mask:0xf bank_mask:0xf// 00000000C6E0: 0A0C76FA FF015018
	v_mfma_f32_16x16x32_fp8_fp8 v[12:15], a[168:169], a[88:89], 0// 00000000C6E8: D3F3000C 1A02B1A8
	buffer_load_dword v84, s[20:23], 0 offen lds               // 00000000C6F0: E0511000 80050054
	s_add_u32 m0, 0x1100, s49                                  // 00000000C6F8: 807C31FF 00001100
	v_mfma_f32_16x16x32_fp8_fp8 v[12:15], a[170:171], a[90:91], v[12:15]// 00000000C700: D3F3000C 1C32B5AA
	v_mfma_f32_16x16x32_fp8_fp8 v[12:15], a[172:173], a[92:93], v[12:15]// 00000000C708: D3F3000C 1C32B9AC
	buffer_load_dword v85, s[20:23], 0 offen lds               // 00000000C710: E0511000 80050055
	s_add_u32 m0, 0x1200, s49                                  // 00000000C718: 807C31FF 00001200
	v_mfma_f32_16x16x32_fp8_fp8 v[12:15], a[174:175], a[94:95], v[12:15]// 00000000C720: D3F3000C 1C32BDAE
	v_fma_f32 v132, v8, v4, v132                               // 00000000C728: D1CB0084 06120908
	v_fma_f32 v133, v9, v4, v133                               // 00000000C730: D1CB0085 06160909
	v_fma_f32 v134, v10, v4, v134                              // 00000000C738: D1CB0086 061A090A
	v_fma_f32 v135, v11, v4, v135                              // 00000000C740: D1CB0087 061E090B
	v_mul_f32_dpp v4, v24, v60 row_newbcast:0 row_mask:0xf bank_mask:0xf// 00000000C748: 0A0878FA FF015018
	v_mfma_f32_16x16x32_fp8_fp8 v[8:11], a[168:169], a[96:97], 0// 00000000C750: D3F30008 1A02C1A8
	buffer_load_dword v86, s[20:23], 0 offen lds               // 00000000C758: E0511000 80050056
	s_add_u32 m0, 0x1300, s49                                  // 00000000C760: 807C31FF 00001300
	v_mfma_f32_16x16x32_fp8_fp8 v[8:11], a[170:171], a[98:99], v[8:11]// 00000000C768: D3F30008 1C22C5AA
	v_mfma_f32_16x16x32_fp8_fp8 v[8:11], a[172:173], a[100:101], v[8:11]// 00000000C770: D3F30008 1C22C9AC
	buffer_load_dword v87, s[20:23], 0 offen lds               // 00000000C778: E0511000 80050057
	s_add_u32 m0, 0, s48                                       // 00000000C780: 807C3080
	v_mfma_f32_16x16x32_fp8_fp8 v[8:11], a[174:175], a[102:103], v[8:11]// 00000000C784: D3F30008 1C22CDAE
	v_fma_f32 v136, v12, v6, v136                              // 00000000C78C: D1CB0088 06220D0C
	v_fma_f32 v137, v13, v6, v137                              // 00000000C794: D1CB0089 06260D0D
	v_fma_f32 v138, v14, v6, v138                              // 00000000C79C: D1CB008A 062A0D0E
	v_fma_f32 v139, v15, v6, v139                              // 00000000C7A4: D1CB008B 062E0D0F
	v_mul_f32_dpp v6, v24, v61 row_newbcast:0 row_mask:0xf bank_mask:0xf// 00000000C7AC: 0A0C7AFA FF015018
	v_mfma_f32_16x16x32_fp8_fp8 v[12:15], a[168:169], a[104:105], 0// 00000000C7B4: D3F3000C 1A02D1A8
	buffer_load_dword v48, v28, s[28:31], 0 offen              // 00000000C7BC: E0501000 8007301C
	v_mfma_f32_16x16x32_fp8_fp8 v[12:15], a[170:171], a[106:107], v[12:15]// 00000000C7C4: D3F3000C 1C32D5AA
	v_mfma_f32_16x16x32_fp8_fp8 v[12:15], a[172:173], a[108:109], v[12:15]// 00000000C7CC: D3F3000C 1C32D9AC
	buffer_load_dword v49, v29, s[28:31], 0 offen              // 00000000C7D4: E0501000 8007311D
	v_mfma_f32_16x16x32_fp8_fp8 v[12:15], a[174:175], a[110:111], v[12:15]// 00000000C7DC: D3F3000C 1C32DDAE
	v_fma_f32 v140, v8, v4, v140                               // 00000000C7E4: D1CB008C 06320908
	v_fma_f32 v141, v9, v4, v141                               // 00000000C7EC: D1CB008D 06360909
	v_fma_f32 v142, v10, v4, v142                              // 00000000C7F4: D1CB008E 063A090A
	v_fma_f32 v143, v11, v4, v143                              // 00000000C7FC: D1CB008F 063E090B
	v_mul_f32_dpp v4, v24, v62 row_newbcast:0 row_mask:0xf bank_mask:0xf// 00000000C804: 0A087CFA FF015018
	v_mfma_f32_16x16x32_fp8_fp8 v[8:11], a[168:169], a[112:113], 0// 00000000C80C: D3F30008 1A02E1A8
	buffer_load_dword v50, v30, s[28:31], 0 offen              // 00000000C814: E0501000 8007321E
	v_mfma_f32_16x16x32_fp8_fp8 v[8:11], a[170:171], a[114:115], v[8:11]// 00000000C81C: D3F30008 1C22E5AA
	v_mfma_f32_16x16x32_fp8_fp8 v[8:11], a[172:173], a[116:117], v[8:11]// 00000000C824: D3F30008 1C22E9AC
	buffer_load_dword v51, v31, s[28:31], 0 offen              // 00000000C82C: E0501000 8007331F
	v_mfma_f32_16x16x32_fp8_fp8 v[8:11], a[174:175], a[118:119], v[8:11]// 00000000C834: D3F30008 1C22EDAE
	v_fma_f32 v144, v12, v6, v144                              // 00000000C83C: D1CB0090 06420D0C
	v_fma_f32 v145, v13, v6, v145                              // 00000000C844: D1CB0091 06460D0D
	v_fma_f32 v146, v14, v6, v146                              // 00000000C84C: D1CB0092 064A0D0E
	v_fma_f32 v147, v15, v6, v147                              // 00000000C854: D1CB0093 064E0D0F
	v_mul_f32_dpp v6, v24, v63 row_newbcast:0 row_mask:0xf bank_mask:0xf// 00000000C85C: 0A0C7EFA FF015018
	v_mfma_f32_16x16x32_fp8_fp8 v[12:15], a[168:169], a[120:121], 0// 00000000C864: D3F3000C 1A02F1A8
	buffer_load_dword v52, v32, s[28:31], 0 offen              // 00000000C86C: E0501000 80073420
	v_mfma_f32_16x16x32_fp8_fp8 v[12:15], a[170:171], a[122:123], v[12:15]// 00000000C874: D3F3000C 1C32F5AA
	v_mfma_f32_16x16x32_fp8_fp8 v[12:15], a[172:173], a[124:125], v[12:15]// 00000000C87C: D3F3000C 1C32F9AC
	buffer_load_dword v53, v33, s[28:31], 0 offen              // 00000000C884: E0501000 80073521
	v_mfma_f32_16x16x32_fp8_fp8 v[12:15], a[174:175], a[126:127], v[12:15]// 00000000C88C: D3F3000C 1C32FDAE
	v_fma_f32 v148, v8, v4, v148                               // 00000000C894: D1CB0094 06520908
	v_fma_f32 v149, v9, v4, v149                               // 00000000C89C: D1CB0095 06560909
	v_fma_f32 v150, v10, v4, v150                              // 00000000C8A4: D1CB0096 065A090A
	v_fma_f32 v151, v11, v4, v151                              // 00000000C8AC: D1CB0097 065E090B
	v_mul_f32_dpp v4, v24, v64 row_newbcast:0 row_mask:0xf bank_mask:0xf// 00000000C8B4: 0A0880FA FF015018
	v_mfma_f32_16x16x32_fp8_fp8 v[8:11], a[168:169], a[128:129], 0// 00000000C8BC: D3F30008 1A0301A8
	buffer_load_dword v54, v34, s[28:31], 0 offen              // 00000000C8C4: E0501000 80073622
	v_mfma_f32_16x16x32_fp8_fp8 v[8:11], a[170:171], a[130:131], v[8:11]// 00000000C8CC: D3F30008 1C2305AA
	v_mfma_f32_16x16x32_fp8_fp8 v[8:11], a[172:173], a[132:133], v[8:11]// 00000000C8D4: D3F30008 1C2309AC
	buffer_load_dword v55, v35, s[28:31], 0 offen              // 00000000C8DC: E0501000 80073723
	v_mfma_f32_16x16x32_fp8_fp8 v[8:11], a[174:175], a[134:135], v[8:11]// 00000000C8E4: D3F30008 1C230DAE
	v_fma_f32 v152, v12, v6, v152                              // 00000000C8EC: D1CB0098 06620D0C
	v_fma_f32 v153, v13, v6, v153                              // 00000000C8F4: D1CB0099 06660D0D
	v_fma_f32 v154, v14, v6, v154                              // 00000000C8FC: D1CB009A 066A0D0E
	v_fma_f32 v155, v15, v6, v155                              // 00000000C904: D1CB009B 066E0D0F
	v_mul_f32_dpp v6, v24, v65 row_newbcast:0 row_mask:0xf bank_mask:0xf// 00000000C90C: 0A0C82FA FF015018
	v_mfma_f32_16x16x32_fp8_fp8 v[12:15], a[168:169], a[136:137], 0// 00000000C914: D3F3000C 1A0311A8
	buffer_load_dword v56, v36, s[28:31], 0 offen              // 00000000C91C: E0501000 80073824
	v_mfma_f32_16x16x32_fp8_fp8 v[12:15], a[170:171], a[138:139], v[12:15]// 00000000C924: D3F3000C 1C3315AA
	v_mfma_f32_16x16x32_fp8_fp8 v[12:15], a[172:173], a[140:141], v[12:15]// 00000000C92C: D3F3000C 1C3319AC
	buffer_load_dword v57, v37, s[28:31], 0 offen              // 00000000C934: E0501000 80073925
	v_mfma_f32_16x16x32_fp8_fp8 v[12:15], a[174:175], a[142:143], v[12:15]// 00000000C93C: D3F3000C 1C331DAE
	v_fma_f32 v156, v8, v4, v156                               // 00000000C944: D1CB009C 06720908
	v_fma_f32 v157, v9, v4, v157                               // 00000000C94C: D1CB009D 06760909
	v_fma_f32 v158, v10, v4, v158                              // 00000000C954: D1CB009E 067A090A
	v_fma_f32 v159, v11, v4, v159                              // 00000000C95C: D1CB009F 067E090B
	v_mul_f32_dpp v4, v24, v66 row_newbcast:0 row_mask:0xf bank_mask:0xf// 00000000C964: 0A0884FA FF015018
	v_mfma_f32_16x16x32_fp8_fp8 v[8:11], a[168:169], a[144:145], 0// 00000000C96C: D3F30008 1A0321A8
	v_mfma_f32_16x16x32_fp8_fp8 v[8:11], a[170:171], a[146:147], v[8:11]// 00000000C974: D3F30008 1C2325AA
	v_mfma_f32_16x16x32_fp8_fp8 v[8:11], a[172:173], a[148:149], v[8:11]// 00000000C97C: D3F30008 1C2329AC
	v_mfma_f32_16x16x32_fp8_fp8 v[8:11], a[174:175], a[150:151], v[8:11]// 00000000C984: D3F30008 1C232DAE
	v_fma_f32 v160, v12, v6, v160                              // 00000000C98C: D1CB00A0 06820D0C
	v_fma_f32 v161, v13, v6, v161                              // 00000000C994: D1CB00A1 06860D0D
	v_fma_f32 v162, v14, v6, v162                              // 00000000C99C: D1CB00A2 068A0D0E
	v_fma_f32 v163, v15, v6, v163                              // 00000000C9A4: D1CB00A3 068E0D0F
	v_mul_f32_dpp v6, v24, v67 row_newbcast:0 row_mask:0xf bank_mask:0xf// 00000000C9AC: 0A0C86FA FF015018
	v_mfma_f32_16x16x32_fp8_fp8 v[12:15], a[168:169], a[152:153], 0// 00000000C9B4: D3F3000C 1A0331A8
	v_mfma_f32_16x16x32_fp8_fp8 v[12:15], a[170:171], a[154:155], v[12:15]// 00000000C9BC: D3F3000C 1C3335AA
	s_add_u32 s60, 0x80, s80                                   // 00000000C9C4: 803C50FF 00000080
	s_cmp_lt_u32 s60, s81                                      // 00000000C9CC: BF0A513C
	s_cselect_b32 s83, s83, 0                                  // 00000000C9D0: 85538053
	s_cselect_b32 s4, s4, 0                                    // 00000000C9D4: 85048004
	v_mfma_f32_16x16x32_fp8_fp8 v[12:15], a[172:173], a[156:157], v[12:15]// 00000000C9D8: D3F3000C 1C3339AC
	s_add_u32 s32, s4, s32                                     // 00000000C9E0: 80202004
	s_addc_u32 s33, 0, s33                                     // 00000000C9E4: 82212180
	v_mfma_f32_16x16x32_fp8_fp8 v[12:15], a[174:175], a[158:159], v[12:15]// 00000000C9E8: D3F3000C 1C333DAE
	v_fma_f32 v164, v8, v4, v164                               // 00000000C9F0: D1CB00A4 06920908
	v_fma_f32 v165, v9, v4, v165                               // 00000000C9F8: D1CB00A5 06960909
	v_fma_f32 v166, v10, v4, v166                              // 00000000CA00: D1CB00A6 069A090A
	v_fma_f32 v167, v11, v4, v167                              // 00000000CA08: D1CB00A7 069E090B
	v_fma_f32 v168, v12, v6, v168                              // 00000000CA10: D1CB00A8 06A20D0C
	v_fma_f32 v169, v13, v6, v169                              // 00000000CA18: D1CB00A9 06A60D0D
	v_fma_f32 v170, v14, v6, v170                              // 00000000CA20: D1CB00AA 06AA0D0E
	v_fma_f32 v171, v15, v6, v171                              // 00000000CA28: D1CB00AB 06AE0D0F
	s_waitcnt vmcnt(30)                                        // 00000000CA30: BF8C4F7E
	v_mul_f32_dpp v4, v27, v58 row_newbcast:0 row_mask:0xf bank_mask:0xf// 00000000CA34: 0A0874FA FF01501B
	v_mfma_f32_16x16x32_fp8_fp8 v[8:11], a[176:177], a[80:81], 0// 00000000CA3C: D3F30008 1A02A1B0
	buffer_load_dword v24, v22, s[32:35], 0 offen              // 00000000CA44: E0501000 80081816
	buffer_load_dwordx4 a[160:163], v88, s[24:27], 0 offen     // 00000000CA4C: E05C1000 8086A058
	v_mfma_f32_16x16x32_fp8_fp8 v[8:11], a[178:179], a[82:83], v[8:11]// 00000000CA54: D3F30008 1C22A5B2
	v_mfma_f32_16x16x32_fp8_fp8 v[8:11], a[180:181], a[84:85], v[8:11]// 00000000CA5C: D3F30008 1C22A9B4
	ds_read_b128 a[0:3], v2                                    // 00000000CA64: DBFE0000 00000002
	ds_read_b128 a[4:7], v2 offset:64                          // 00000000CA6C: DBFE0040 04000002
	v_mfma_f32_16x16x32_fp8_fp8 v[8:11], a[182:183], a[86:87], v[8:11]// 00000000CA74: D3F30008 1C22ADB6
	v_mfma_f32_16x16x32_fp8_fp8 v[12:15], a[184:185], a[80:81], 0// 00000000CA7C: D3F3000C 1A02A1B8
	buffer_load_dwordx4 a[164:167], v88, s[24:27], 0 offen offset:1024// 00000000CA84: E05C1400 8086A458
	v_mfma_f32_16x16x32_fp8_fp8 v[12:15], a[186:187], a[82:83], v[12:15]// 00000000CA8C: D3F3000C 1C32A5BA
	v_mfma_f32_16x16x32_fp8_fp8 v[12:15], a[188:189], a[84:85], v[12:15]// 00000000CA94: D3F3000C 1C32A9BC
	ds_read_b128 a[8:11], v2 offset:512                        // 00000000CA9C: DBFE0200 08000002
	ds_read_b128 a[12:15], v2 offset:576                       // 00000000CAA4: DBFE0240 0C000002
	v_mfma_f32_16x16x32_fp8_fp8 v[12:15], a[190:191], a[86:87], v[12:15]// 00000000CAAC: D3F3000C 1C32ADBE
	v_fma_f32 v172, v8, v4, v172                               // 00000000CAB4: D1CB00AC 06B20908
	v_fma_f32 v173, v9, v4, v173                               // 00000000CABC: D1CB00AD 06B60909
	v_fma_f32 v174, v10, v4, v174                              // 00000000CAC4: D1CB00AE 06BA090A
	v_fma_f32 v175, v11, v4, v175                              // 00000000CACC: D1CB00AF 06BE090B
	v_mul_f32_dpp v6, v27, v59 row_newbcast:0 row_mask:0xf bank_mask:0xf// 00000000CAD4: 0A0C76FA FF01501B
	v_mfma_f32_16x16x32_fp8_fp8 v[8:11], a[176:177], a[88:89], 0// 00000000CADC: D3F30008 1A02B1B0
	buffer_load_dwordx4 a[168:171], v89, s[24:27], 0 offen     // 00000000CAE4: E05C1000 8086A859
	v_mfma_f32_16x16x32_fp8_fp8 v[8:11], a[178:179], a[90:91], v[8:11]// 00000000CAEC: D3F30008 1C22B5B2
	v_mfma_f32_16x16x32_fp8_fp8 v[8:11], a[180:181], a[92:93], v[8:11]// 00000000CAF4: D3F30008 1C22B9B4
	ds_read_b128 a[16:19], v2 offset:1024                      // 00000000CAFC: DBFE0400 10000002
	ds_read_b128 a[20:23], v2 offset:1088                      // 00000000CB04: DBFE0440 14000002
	v_mfma_f32_16x16x32_fp8_fp8 v[8:11], a[182:183], a[94:95], v[8:11]// 00000000CB0C: D3F30008 1C22BDB6
	v_fma_f32 v212, v12, v4, v212                              // 00000000CB14: D1CB00D4 0752090C
	v_fma_f32 v213, v13, v4, v213                              // 00000000CB1C: D1CB00D5 0756090D
	v_fma_f32 v214, v14, v4, v214                              // 00000000CB24: D1CB00D6 075A090E
	v_fma_f32 v215, v15, v4, v215                              // 00000000CB2C: D1CB00D7 075E090F
	v_mfma_f32_16x16x32_fp8_fp8 v[12:15], a[184:185], a[88:89], 0// 00000000CB34: D3F3000C 1A02B1B8
	buffer_load_dwordx4 a[172:175], v89, s[24:27], 0 offen offset:1024// 00000000CB3C: E05C1400 8086AC59
	v_mfma_f32_16x16x32_fp8_fp8 v[12:15], a[186:187], a[90:91], v[12:15]// 00000000CB44: D3F3000C 1C32B5BA
	v_mfma_f32_16x16x32_fp8_fp8 v[12:15], a[188:189], a[92:93], v[12:15]// 00000000CB4C: D3F3000C 1C32B9BC
	ds_read_b128 a[24:27], v2 offset:1536                      // 00000000CB54: DBFE0600 18000002
	ds_read_b128 a[28:31], v2 offset:1600                      // 00000000CB5C: DBFE0640 1C000002
	v_mfma_f32_16x16x32_fp8_fp8 v[12:15], a[190:191], a[94:95], v[12:15]// 00000000CB64: D3F3000C 1C32BDBE
	v_fma_f32 v176, v8, v6, v176                               // 00000000CB6C: D1CB00B0 06C20D08
	v_fma_f32 v177, v9, v6, v177                               // 00000000CB74: D1CB00B1 06C60D09
	v_fma_f32 v178, v10, v6, v178                              // 00000000CB7C: D1CB00B2 06CA0D0A
	v_fma_f32 v179, v11, v6, v179                              // 00000000CB84: D1CB00B3 06CE0D0B
	v_mul_f32_dpp v4, v27, v60 row_newbcast:0 row_mask:0xf bank_mask:0xf// 00000000CB8C: 0A0878FA FF01501B
	v_mfma_f32_16x16x32_fp8_fp8 v[8:11], a[176:177], a[96:97], 0// 00000000CB94: D3F30008 1A02C1B0
	v_mfma_f32_16x16x32_fp8_fp8 v[8:11], a[178:179], a[98:99], v[8:11]// 00000000CB9C: D3F30008 1C22C5B2
	v_mfma_f32_16x16x32_fp8_fp8 v[8:11], a[180:181], a[100:101], v[8:11]// 00000000CBA4: D3F30008 1C22C9B4
	ds_read_b128 a[32:35], v2 offset:2048                      // 00000000CBAC: DBFE0800 20000002
	ds_read_b128 a[36:39], v2 offset:2112                      // 00000000CBB4: DBFE0840 24000002
	v_mfma_f32_16x16x32_fp8_fp8 v[8:11], a[182:183], a[102:103], v[8:11]// 00000000CBBC: D3F30008 1C22CDB6
	v_fma_f32 v216, v12, v6, v216                              // 00000000CBC4: D1CB00D8 07620D0C
	v_fma_f32 v217, v13, v6, v217                              // 00000000CBCC: D1CB00D9 07660D0D
	v_fma_f32 v218, v14, v6, v218                              // 00000000CBD4: D1CB00DA 076A0D0E
	v_fma_f32 v219, v15, v6, v219                              // 00000000CBDC: D1CB00DB 076E0D0F
	v_mfma_f32_16x16x32_fp8_fp8 v[12:15], a[184:185], a[96:97], 0// 00000000CBE4: D3F3000C 1A02C1B8
	v_mfma_f32_16x16x32_fp8_fp8 v[12:15], a[186:187], a[98:99], v[12:15]// 00000000CBEC: D3F3000C 1C32C5BA
	v_mfma_f32_16x16x32_fp8_fp8 v[12:15], a[188:189], a[100:101], v[12:15]// 00000000CBF4: D3F3000C 1C32C9BC
	ds_read_b128 a[40:43], v2 offset:2560                      // 00000000CBFC: DBFE0A00 28000002
	ds_read_b128 a[44:47], v2 offset:2624                      // 00000000CC04: DBFE0A40 2C000002
	v_mfma_f32_16x16x32_fp8_fp8 v[12:15], a[190:191], a[102:103], v[12:15]// 00000000CC0C: D3F3000C 1C32CDBE
	v_fma_f32 v180, v8, v4, v180                               // 00000000CC14: D1CB00B4 06D20908
	v_fma_f32 v181, v9, v4, v181                               // 00000000CC1C: D1CB00B5 06D60909
	v_fma_f32 v182, v10, v4, v182                              // 00000000CC24: D1CB00B6 06DA090A
	v_fma_f32 v183, v11, v4, v183                              // 00000000CC2C: D1CB00B7 06DE090B
	v_mul_f32_dpp v6, v27, v61 row_newbcast:0 row_mask:0xf bank_mask:0xf// 00000000CC34: 0A0C7AFA FF01501B
	v_mfma_f32_16x16x32_fp8_fp8 v[8:11], a[176:177], a[104:105], 0// 00000000CC3C: D3F30008 1A02D1B0
	v_mfma_f32_16x16x32_fp8_fp8 v[8:11], a[178:179], a[106:107], v[8:11]// 00000000CC44: D3F30008 1C22D5B2
	v_mfma_f32_16x16x32_fp8_fp8 v[8:11], a[180:181], a[108:109], v[8:11]// 00000000CC4C: D3F30008 1C22D9B4
	ds_read_b128 a[48:51], v2 offset:3072                      // 00000000CC54: DBFE0C00 30000002
	ds_read_b128 a[52:55], v2 offset:3136                      // 00000000CC5C: DBFE0C40 34000002
	v_mfma_f32_16x16x32_fp8_fp8 v[8:11], a[182:183], a[110:111], v[8:11]// 00000000CC64: D3F30008 1C22DDB6
	v_fma_f32 v220, v12, v4, v220                              // 00000000CC6C: D1CB00DC 0772090C
	v_fma_f32 v221, v13, v4, v221                              // 00000000CC74: D1CB00DD 0776090D
	v_fma_f32 v222, v14, v4, v222                              // 00000000CC7C: D1CB00DE 077A090E
	v_fma_f32 v223, v15, v4, v223                              // 00000000CC84: D1CB00DF 077E090F
	v_mfma_f32_16x16x32_fp8_fp8 v[12:15], a[184:185], a[104:105], 0// 00000000CC8C: D3F3000C 1A02D1B8
	v_mfma_f32_16x16x32_fp8_fp8 v[12:15], a[186:187], a[106:107], v[12:15]// 00000000CC94: D3F3000C 1C32D5BA
	v_mfma_f32_16x16x32_fp8_fp8 v[12:15], a[188:189], a[108:109], v[12:15]// 00000000CC9C: D3F3000C 1C32D9BC
	ds_read_b128 a[56:59], v2 offset:3584                      // 00000000CCA4: DBFE0E00 38000002
	ds_read_b128 a[60:63], v2 offset:3648                      // 00000000CCAC: DBFE0E40 3C000002
	v_mfma_f32_16x16x32_fp8_fp8 v[12:15], a[190:191], a[110:111], v[12:15]// 00000000CCB4: D3F3000C 1C32DDBE
	v_fma_f32 v184, v8, v6, v184                               // 00000000CCBC: D1CB00B8 06E20D08
	v_fma_f32 v185, v9, v6, v185                               // 00000000CCC4: D1CB00B9 06E60D09
	v_fma_f32 v186, v10, v6, v186                              // 00000000CCCC: D1CB00BA 06EA0D0A
	v_fma_f32 v187, v11, v6, v187                              // 00000000CCD4: D1CB00BB 06EE0D0B
	v_mul_f32_dpp v4, v27, v62 row_newbcast:0 row_mask:0xf bank_mask:0xf// 00000000CCDC: 0A087CFA FF01501B
	v_mfma_f32_16x16x32_fp8_fp8 v[8:11], a[176:177], a[112:113], 0// 00000000CCE4: D3F30008 1A02E1B0
	v_mfma_f32_16x16x32_fp8_fp8 v[8:11], a[178:179], a[114:115], v[8:11]// 00000000CCEC: D3F30008 1C22E5B2
	v_mfma_f32_16x16x32_fp8_fp8 v[8:11], a[180:181], a[116:117], v[8:11]// 00000000CCF4: D3F30008 1C22E9B4
	ds_read_b128 a[64:67], v2 offset:4096                      // 00000000CCFC: DBFE1000 40000002
	ds_read_b128 a[68:71], v2 offset:4160                      // 00000000CD04: DBFE1040 44000002
	v_mfma_f32_16x16x32_fp8_fp8 v[8:11], a[182:183], a[118:119], v[8:11]// 00000000CD0C: D3F30008 1C22EDB6
	v_fma_f32 v224, v12, v6, v224                              // 00000000CD14: D1CB00E0 07820D0C
	v_fma_f32 v225, v13, v6, v225                              // 00000000CD1C: D1CB00E1 07860D0D
	v_fma_f32 v226, v14, v6, v226                              // 00000000CD24: D1CB00E2 078A0D0E
	v_fma_f32 v227, v15, v6, v227                              // 00000000CD2C: D1CB00E3 078E0D0F
	v_mfma_f32_16x16x32_fp8_fp8 v[12:15], a[184:185], a[112:113], 0// 00000000CD34: D3F3000C 1A02E1B8
	v_mfma_f32_16x16x32_fp8_fp8 v[12:15], a[186:187], a[114:115], v[12:15]// 00000000CD3C: D3F3000C 1C32E5BA
	v_mfma_f32_16x16x32_fp8_fp8 v[12:15], a[188:189], a[116:117], v[12:15]// 00000000CD44: D3F3000C 1C32E9BC
	ds_read_b128 a[72:75], v2 offset:4608                      // 00000000CD4C: DBFE1200 48000002
	ds_read_b128 a[76:79], v2 offset:4672                      // 00000000CD54: DBFE1240 4C000002
	v_mfma_f32_16x16x32_fp8_fp8 v[12:15], a[190:191], a[118:119], v[12:15]// 00000000CD5C: D3F3000C 1C32EDBE
	v_fma_f32 v188, v8, v4, v188                               // 00000000CD64: D1CB00BC 06F20908
	v_fma_f32 v189, v9, v4, v189                               // 00000000CD6C: D1CB00BD 06F60909
	v_fma_f32 v190, v10, v4, v190                              // 00000000CD74: D1CB00BE 06FA090A
	v_fma_f32 v191, v11, v4, v191                              // 00000000CD7C: D1CB00BF 06FE090B
	v_mul_f32_dpp v6, v27, v63 row_newbcast:0 row_mask:0xf bank_mask:0xf// 00000000CD84: 0A0C7EFA FF01501B
	v_mfma_f32_16x16x32_fp8_fp8 v[8:11], a[176:177], a[120:121], 0// 00000000CD8C: D3F30008 1A02F1B0
	v_mfma_f32_16x16x32_fp8_fp8 v[8:11], a[178:179], a[122:123], v[8:11]// 00000000CD94: D3F30008 1C22F5B2
	v_mfma_f32_16x16x32_fp8_fp8 v[8:11], a[180:181], a[124:125], v[8:11]// 00000000CD9C: D3F30008 1C22F9B4
	v_mfma_f32_16x16x32_fp8_fp8 v[8:11], a[182:183], a[126:127], v[8:11]// 00000000CDA4: D3F30008 1C22FDB6
	v_fma_f32 v228, v12, v4, v228                              // 00000000CDAC: D1CB00E4 0792090C
	v_fma_f32 v229, v13, v4, v229                              // 00000000CDB4: D1CB00E5 0796090D
	v_fma_f32 v230, v14, v4, v230                              // 00000000CDBC: D1CB00E6 079A090E
	v_fma_f32 v231, v15, v4, v231                              // 00000000CDC4: D1CB00E7 079E090F
	v_mfma_f32_16x16x32_fp8_fp8 v[12:15], a[184:185], a[120:121], 0// 00000000CDCC: D3F3000C 1A02F1B8
	v_mfma_f32_16x16x32_fp8_fp8 v[12:15], a[186:187], a[122:123], v[12:15]// 00000000CDD4: D3F3000C 1C32F5BA
	v_mfma_f32_16x16x32_fp8_fp8 v[12:15], a[188:189], a[124:125], v[12:15]// 00000000CDDC: D3F3000C 1C32F9BC
	v_mfma_f32_16x16x32_fp8_fp8 v[12:15], a[190:191], a[126:127], v[12:15]// 00000000CDE4: D3F3000C 1C32FDBE
	v_fma_f32 v192, v8, v6, v192                               // 00000000CDEC: D1CB00C0 07020D08
	v_fma_f32 v193, v9, v6, v193                               // 00000000CDF4: D1CB00C1 07060D09
	v_fma_f32 v194, v10, v6, v194                              // 00000000CDFC: D1CB00C2 070A0D0A
	v_fma_f32 v195, v11, v6, v195                              // 00000000CE04: D1CB00C3 070E0D0B
	v_mul_f32_dpp v4, v27, v64 row_newbcast:0 row_mask:0xf bank_mask:0xf// 00000000CE0C: 0A0880FA FF01501B
	v_mfma_f32_16x16x32_fp8_fp8 v[8:11], a[176:177], a[128:129], 0// 00000000CE14: D3F30008 1A0301B0
	v_mfma_f32_16x16x32_fp8_fp8 v[8:11], a[178:179], a[130:131], v[8:11]// 00000000CE1C: D3F30008 1C2305B2
	v_mfma_f32_16x16x32_fp8_fp8 v[8:11], a[180:181], a[132:133], v[8:11]// 00000000CE24: D3F30008 1C2309B4
	v_mfma_f32_16x16x32_fp8_fp8 v[8:11], a[182:183], a[134:135], v[8:11]// 00000000CE2C: D3F30008 1C230DB6
	v_fma_f32 v232, v12, v6, v232                              // 00000000CE34: D1CB00E8 07A20D0C
	v_fma_f32 v233, v13, v6, v233                              // 00000000CE3C: D1CB00E9 07A60D0D
	v_fma_f32 v234, v14, v6, v234                              // 00000000CE44: D1CB00EA 07AA0D0E
	v_fma_f32 v235, v15, v6, v235                              // 00000000CE4C: D1CB00EB 07AE0D0F
	v_mfma_f32_16x16x32_fp8_fp8 v[12:15], a[184:185], a[128:129], 0// 00000000CE54: D3F3000C 1A0301B8
	v_mfma_f32_16x16x32_fp8_fp8 v[12:15], a[186:187], a[130:131], v[12:15]// 00000000CE5C: D3F3000C 1C3305BA
	v_mfma_f32_16x16x32_fp8_fp8 v[12:15], a[188:189], a[132:133], v[12:15]// 00000000CE64: D3F3000C 1C3309BC
	v_mfma_f32_16x16x32_fp8_fp8 v[12:15], a[190:191], a[134:135], v[12:15]// 00000000CE6C: D3F3000C 1C330DBE
	v_fma_f32 v196, v8, v4, v196                               // 00000000CE74: D1CB00C4 07120908
	v_fma_f32 v197, v9, v4, v197                               // 00000000CE7C: D1CB00C5 07160909
	v_fma_f32 v198, v10, v4, v198                              // 00000000CE84: D1CB00C6 071A090A
	v_fma_f32 v199, v11, v4, v199                              // 00000000CE8C: D1CB00C7 071E090B
	v_mul_f32_dpp v6, v27, v65 row_newbcast:0 row_mask:0xf bank_mask:0xf// 00000000CE94: 0A0C82FA FF01501B
	v_mfma_f32_16x16x32_fp8_fp8 v[8:11], a[176:177], a[136:137], 0// 00000000CE9C: D3F30008 1A0311B0
	v_mfma_f32_16x16x32_fp8_fp8 v[8:11], a[178:179], a[138:139], v[8:11]// 00000000CEA4: D3F30008 1C2315B2
	v_mfma_f32_16x16x32_fp8_fp8 v[8:11], a[180:181], a[140:141], v[8:11]// 00000000CEAC: D3F30008 1C2319B4
	v_mfma_f32_16x16x32_fp8_fp8 v[8:11], a[182:183], a[142:143], v[8:11]// 00000000CEB4: D3F30008 1C231DB6
	v_fma_f32 v236, v12, v4, v236                              // 00000000CEBC: D1CB00EC 07B2090C
	v_fma_f32 v237, v13, v4, v237                              // 00000000CEC4: D1CB00ED 07B6090D
	v_fma_f32 v238, v14, v4, v238                              // 00000000CECC: D1CB00EE 07BA090E
	v_fma_f32 v239, v15, v4, v239                              // 00000000CED4: D1CB00EF 07BE090F
	v_mfma_f32_16x16x32_fp8_fp8 v[12:15], a[184:185], a[136:137], 0// 00000000CEDC: D3F3000C 1A0311B8
	v_mfma_f32_16x16x32_fp8_fp8 v[12:15], a[186:187], a[138:139], v[12:15]// 00000000CEE4: D3F3000C 1C3315BA
	v_mfma_f32_16x16x32_fp8_fp8 v[12:15], a[188:189], a[140:141], v[12:15]// 00000000CEEC: D3F3000C 1C3319BC
	v_mfma_f32_16x16x32_fp8_fp8 v[12:15], a[190:191], a[142:143], v[12:15]// 00000000CEF4: D3F3000C 1C331DBE
	v_fma_f32 v200, v8, v6, v200                               // 00000000CEFC: D1CB00C8 07220D08
	v_fma_f32 v201, v9, v6, v201                               // 00000000CF04: D1CB00C9 07260D09
	v_fma_f32 v202, v10, v6, v202                              // 00000000CF0C: D1CB00CA 072A0D0A
	v_fma_f32 v203, v11, v6, v203                              // 00000000CF14: D1CB00CB 072E0D0B
	v_mul_f32_dpp v4, v27, v66 row_newbcast:0 row_mask:0xf bank_mask:0xf// 00000000CF1C: 0A0884FA FF01501B
	v_mfma_f32_16x16x32_fp8_fp8 v[8:11], a[176:177], a[144:145], 0// 00000000CF24: D3F30008 1A0321B0
	v_mfma_f32_16x16x32_fp8_fp8 v[8:11], a[178:179], a[146:147], v[8:11]// 00000000CF2C: D3F30008 1C2325B2
	v_mfma_f32_16x16x32_fp8_fp8 v[8:11], a[180:181], a[148:149], v[8:11]// 00000000CF34: D3F30008 1C2329B4
	v_mfma_f32_16x16x32_fp8_fp8 v[8:11], a[182:183], a[150:151], v[8:11]// 00000000CF3C: D3F30008 1C232DB6
	v_fma_f32 v240, v12, v6, v240                              // 00000000CF44: D1CB00F0 07C20D0C
	v_fma_f32 v241, v13, v6, v241                              // 00000000CF4C: D1CB00F1 07C60D0D
	v_fma_f32 v242, v14, v6, v242                              // 00000000CF54: D1CB00F2 07CA0D0E
	v_fma_f32 v243, v15, v6, v243                              // 00000000CF5C: D1CB00F3 07CE0D0F
	v_mfma_f32_16x16x32_fp8_fp8 v[12:15], a[184:185], a[144:145], 0// 00000000CF64: D3F3000C 1A0321B8
	v_mfma_f32_16x16x32_fp8_fp8 v[12:15], a[186:187], a[146:147], v[12:15]// 00000000CF6C: D3F3000C 1C3325BA
	v_mfma_f32_16x16x32_fp8_fp8 v[12:15], a[188:189], a[148:149], v[12:15]// 00000000CF74: D3F3000C 1C3329BC
	v_mfma_f32_16x16x32_fp8_fp8 v[12:15], a[190:191], a[150:151], v[12:15]// 00000000CF7C: D3F3000C 1C332DBE
	v_fma_f32 v204, v8, v4, v204                               // 00000000CF84: D1CB00CC 07320908
	v_fma_f32 v205, v9, v4, v205                               // 00000000CF8C: D1CB00CD 07360909
	v_fma_f32 v206, v10, v4, v206                              // 00000000CF94: D1CB00CE 073A090A
	v_fma_f32 v207, v11, v4, v207                              // 00000000CF9C: D1CB00CF 073E090B
	v_mul_f32_dpp v6, v27, v67 row_newbcast:0 row_mask:0xf bank_mask:0xf// 00000000CFA4: 0A0C86FA FF01501B
	v_mfma_f32_16x16x32_fp8_fp8 v[8:11], a[176:177], a[152:153], 0// 00000000CFAC: D3F30008 1A0331B0
	v_mfma_f32_16x16x32_fp8_fp8 v[8:11], a[178:179], a[154:155], v[8:11]// 00000000CFB4: D3F30008 1C2335B2
	v_mfma_f32_16x16x32_fp8_fp8 v[8:11], a[180:181], a[156:157], v[8:11]// 00000000CFBC: D3F30008 1C2339B4
	s_add_u32 s60, 0x180, s80                                  // 00000000CFC4: 803C50FF 00000180
	s_cmp_lt_u32 s60, s81                                      // 00000000CFCC: BF0A513C
	s_cselect_b32 s57, s57, 0                                  // 00000000CFD0: 85398039
	s_cselect_b32 s3, s3, 0                                    // 00000000CFD4: 85038003
	v_mfma_f32_16x16x32_fp8_fp8 v[8:11], a[182:183], a[158:159], v[8:11]// 00000000CFD8: D3F30008 1C233DB6
	s_add_u32 s60, 0x100, s80                                  // 00000000CFE0: 803C50FF 00000100
	s_cmp_lt_u32 s60, s81                                      // 00000000CFE8: BF0A513C
	s_cselect_b32 s58, s58, 0                                  // 00000000CFEC: 853A803A
	v_fma_f32 v244, v12, v4, v244                              // 00000000CFF0: D1CB00F4 07D2090C
	v_fma_f32 v245, v13, v4, v245                              // 00000000CFF8: D1CB00F5 07D6090D
	v_fma_f32 v246, v14, v4, v246                              // 00000000D000: D1CB00F6 07DA090E
	v_fma_f32 v247, v15, v4, v247                              // 00000000D008: D1CB00F7 07DE090F
	v_mfma_f32_16x16x32_fp8_fp8 v[12:15], a[184:185], a[152:153], 0// 00000000D010: D3F3000C 1A0331B8
	s_add_u32 s24, s58, s24                                    // 00000000D018: 8018183A
	s_addc_u32 s25, 0, s25                                     // 00000000D01C: 82191980
	v_mfma_f32_16x16x32_fp8_fp8 v[12:15], a[186:187], a[154:155], v[12:15]// 00000000D020: D3F3000C 1C3335BA
	s_add_u32 s20, s57, s20                                    // 00000000D028: 80141439
	s_addc_u32 s21, 0, s21                                     // 00000000D02C: 82151580
	s_add_u32 s28, s3, s28                                     // 00000000D030: 801C1C03
	s_addc_u32 s29, 0, s29                                     // 00000000D034: 821D1D80
	v_mfma_f32_16x16x32_fp8_fp8 v[12:15], a[188:189], a[156:157], v[12:15]// 00000000D038: D3F3000C 1C3339BC
	s_add_u32 s84, s83, s84                                    // 00000000D040: 80545453
	s_addc_u32 s85, 0, s85                                     // 00000000D044: 82555580
	v_mfma_f32_16x16x32_fp8_fp8 v[12:15], a[190:191], a[158:159], v[12:15]// 00000000D048: D3F3000C 1C333DBE
	v_fma_f32 v208, v8, v6, v208                               // 00000000D050: D1CB00D0 07420D08
	v_fma_f32 v209, v9, v6, v209                               // 00000000D058: D1CB00D1 07460D09
	v_fma_f32 v210, v10, v6, v210                              // 00000000D060: D1CB00D2 074A0D0A
	v_fma_f32 v211, v11, v6, v211                              // 00000000D068: D1CB00D3 074E0D0B
	v_fma_f32 v248, v12, v6, v248                              // 00000000D070: D1CB00F8 07E20D0C
	v_fma_f32 v249, v13, v6, v249                              // 00000000D078: D1CB00F9 07E60D0D
	v_fma_f32 v250, v14, v6, v250                              // 00000000D080: D1CB00FA 07EA0D0E
	v_fma_f32 v251, v15, v6, v251                              // 00000000D088: D1CB00FB 07EE0D0F
	s_addk_i32 s80, 0x80                                       // 00000000D090: B7500080
	s_cmp_lt_i32 s80, s81                                      // 00000000D094: BF045150
	s_cbranch_scc0 label_29AB                                  // 00000000D098: BF840001
	s_branch label_22A2                                        // 00000000D09C: BF82F8F7

000000000000d0a0 <label_29AB>:
	s_cmp_eq_u32 s88, 0                                        // 00000000D0A0: BF068058
	s_cbranch_scc0 label_36FA                                  // 00000000D0A4: BF840D4D
	s_cmp_eq_u32 s89, 0                                        // 00000000D0A8: BF068059
	s_cbranch_scc1 label_2CD4                                  // 00000000D0AC: BF850325
	v_mov_b32_e32 v8, v1                                       // 00000000D0B0: 7E100301
	v_mov_b32_e32 v9, v1                                       // 00000000D0B4: 7E120301
	s_mov_b32 s60, s6                                          // 00000000D0B8: BEBC0006
	s_mov_b32 s61, s6                                          // 00000000D0BC: BEBD0006
	v_pk_mul_f32 v[4:5], v[92:93], v[92:93]                    // 00000000D0C0: D3B14004 1802B95C
	v_pk_mul_f32 v[6:7], v[94:95], v[94:95]                    // 00000000D0C8: D3B14006 1802BD5E
	v_pk_fma_f32 v[4:5], v[4:5], s[78:79], v[8:9]              // 00000000D0D0: D3B04004 1C209D04
	v_pk_fma_f32 v[6:7], v[6:7], s[78:79], v[8:9]              // 00000000D0D8: D3B04006 1C209D06
	v_pk_mul_f32 v[4:5], v[4:5], v[92:93]                      // 00000000D0E0: D3B14004 1802B904
	v_pk_mul_f32 v[6:7], v[6:7], v[94:95]                      // 00000000D0E8: D3B14006 1802BD06
	v_pk_mul_f32 v[4:5], v[4:5], s[60:61]                      // 00000000D0F0: D3B14004 18007904
	v_pk_mul_f32 v[6:7], v[6:7], s[60:61]                      // 00000000D0F8: D3B14006 18007906
	v_exp_f32_e32 v4, v4                                       // 00000000D100: 7E084104
	v_exp_f32_e32 v5, v5                                       // 00000000D104: 7E0A4105
	v_exp_f32_e32 v6, v6                                       // 00000000D108: 7E0C4106
	v_exp_f32_e32 v7, v7                                       // 00000000D10C: 7E0E4107
	v_add_f32_e64 v4, v4, 1.0                                  // 00000000D110: D1010004 0001E504
	v_add_f32_e64 v5, v5, 1.0                                  // 00000000D118: D1010005 0001E505
	v_add_f32_e64 v6, v6, 1.0                                  // 00000000D120: D1010006 0001E506
	v_add_f32_e64 v7, v7, 1.0                                  // 00000000D128: D1010007 0001E507
	v_rcp_f32_e32 v4, v4                                       // 00000000D130: 7E084504
	v_rcp_f32_e32 v5, v5                                       // 00000000D134: 7E0A4505
	v_rcp_f32_e32 v6, v6                                       // 00000000D138: 7E0C4506
	v_rcp_f32_e32 v7, v7                                       // 00000000D13C: 7E0E4507
	v_mul_f32_e32 v92, v92, v4                                 // 00000000D140: 0AB8095C
	v_mul_f32_e32 v93, v93, v5                                 // 00000000D144: 0ABA0B5D
	v_mul_f32_e32 v94, v94, v6                                 // 00000000D148: 0ABC0D5E
	v_mul_f32_e32 v95, v95, v7                                 // 00000000D14C: 0ABE0F5F
	v_mul_f32_e32 v92, v92, v172                               // 00000000D150: 0AB9595C
	v_mul_f32_e32 v93, v93, v173                               // 00000000D154: 0ABB5B5D
	v_mul_f32_e32 v94, v94, v174                               // 00000000D158: 0ABD5D5E
	v_mul_f32_e32 v95, v95, v175                               // 00000000D15C: 0ABF5F5F
	v_pk_mul_f32 v[4:5], v[96:97], v[96:97]                    // 00000000D160: D3B14004 1802C160
	v_pk_mul_f32 v[6:7], v[98:99], v[98:99]                    // 00000000D168: D3B14006 1802C562
	v_pk_fma_f32 v[4:5], v[4:5], s[78:79], v[8:9]              // 00000000D170: D3B04004 1C209D04
	v_pk_fma_f32 v[6:7], v[6:7], s[78:79], v[8:9]              // 00000000D178: D3B04006 1C209D06
	v_pk_mul_f32 v[4:5], v[4:5], v[96:97]                      // 00000000D180: D3B14004 1802C104
	v_pk_mul_f32 v[6:7], v[6:7], v[98:99]                      // 00000000D188: D3B14006 1802C506
	v_pk_mul_f32 v[4:5], v[4:5], s[60:61]                      // 00000000D190: D3B14004 18007904
	v_pk_mul_f32 v[6:7], v[6:7], s[60:61]                      // 00000000D198: D3B14006 18007906
	v_exp_f32_e32 v4, v4                                       // 00000000D1A0: 7E084104
	v_exp_f32_e32 v5, v5                                       // 00000000D1A4: 7E0A4105
	v_exp_f32_e32 v6, v6                                       // 00000000D1A8: 7E0C4106
	v_exp_f32_e32 v7, v7                                       // 00000000D1AC: 7E0E4107
	v_add_f32_e64 v4, v4, 1.0                                  // 00000000D1B0: D1010004 0001E504
	v_add_f32_e64 v5, v5, 1.0                                  // 00000000D1B8: D1010005 0001E505
	v_add_f32_e64 v6, v6, 1.0                                  // 00000000D1C0: D1010006 0001E506
	v_add_f32_e64 v7, v7, 1.0                                  // 00000000D1C8: D1010007 0001E507
	v_rcp_f32_e32 v4, v4                                       // 00000000D1D0: 7E084504
	v_rcp_f32_e32 v5, v5                                       // 00000000D1D4: 7E0A4505
	v_rcp_f32_e32 v6, v6                                       // 00000000D1D8: 7E0C4506
	v_rcp_f32_e32 v7, v7                                       // 00000000D1DC: 7E0E4507
	v_mul_f32_e32 v96, v96, v4                                 // 00000000D1E0: 0AC00960
	v_mul_f32_e32 v97, v97, v5                                 // 00000000D1E4: 0AC20B61
	v_mul_f32_e32 v98, v98, v6                                 // 00000000D1E8: 0AC40D62
	v_mul_f32_e32 v99, v99, v7                                 // 00000000D1EC: 0AC60F63
	v_mul_f32_e32 v96, v96, v176                               // 00000000D1F0: 0AC16160
	v_mul_f32_e32 v97, v97, v177                               // 00000000D1F4: 0AC36361
	v_mul_f32_e32 v98, v98, v178                               // 00000000D1F8: 0AC56562
	v_mul_f32_e32 v99, v99, v179                               // 00000000D1FC: 0AC76763
	v_pk_mul_f32 v[4:5], v[100:101], v[100:101]                // 00000000D200: D3B14004 1802C964
	v_pk_mul_f32 v[6:7], v[102:103], v[102:103]                // 00000000D208: D3B14006 1802CD66
	v_pk_fma_f32 v[4:5], v[4:5], s[78:79], v[8:9]              // 00000000D210: D3B04004 1C209D04
	v_pk_fma_f32 v[6:7], v[6:7], s[78:79], v[8:9]              // 00000000D218: D3B04006 1C209D06
	v_pk_mul_f32 v[4:5], v[4:5], v[100:101]                    // 00000000D220: D3B14004 1802C904
	v_pk_mul_f32 v[6:7], v[6:7], v[102:103]                    // 00000000D228: D3B14006 1802CD06
	v_pk_mul_f32 v[4:5], v[4:5], s[60:61]                      // 00000000D230: D3B14004 18007904
	v_pk_mul_f32 v[6:7], v[6:7], s[60:61]                      // 00000000D238: D3B14006 18007906
	v_exp_f32_e32 v4, v4                                       // 00000000D240: 7E084104
	v_exp_f32_e32 v5, v5                                       // 00000000D244: 7E0A4105
	v_exp_f32_e32 v6, v6                                       // 00000000D248: 7E0C4106
	v_exp_f32_e32 v7, v7                                       // 00000000D24C: 7E0E4107
	v_add_f32_e64 v4, v4, 1.0                                  // 00000000D250: D1010004 0001E504
	v_add_f32_e64 v5, v5, 1.0                                  // 00000000D258: D1010005 0001E505
	v_add_f32_e64 v6, v6, 1.0                                  // 00000000D260: D1010006 0001E506
	v_add_f32_e64 v7, v7, 1.0                                  // 00000000D268: D1010007 0001E507
	v_rcp_f32_e32 v4, v4                                       // 00000000D270: 7E084504
	v_rcp_f32_e32 v5, v5                                       // 00000000D274: 7E0A4505
	v_rcp_f32_e32 v6, v6                                       // 00000000D278: 7E0C4506
	v_rcp_f32_e32 v7, v7                                       // 00000000D27C: 7E0E4507
	v_mul_f32_e32 v100, v100, v4                               // 00000000D280: 0AC80964
	v_mul_f32_e32 v101, v101, v5                               // 00000000D284: 0ACA0B65
	v_mul_f32_e32 v102, v102, v6                               // 00000000D288: 0ACC0D66
	v_mul_f32_e32 v103, v103, v7                               // 00000000D28C: 0ACE0F67
	v_mul_f32_e32 v100, v100, v180                             // 00000000D290: 0AC96964
	v_mul_f32_e32 v101, v101, v181                             // 00000000D294: 0ACB6B65
	v_mul_f32_e32 v102, v102, v182                             // 00000000D298: 0ACD6D66
	v_mul_f32_e32 v103, v103, v183                             // 00000000D29C: 0ACF6F67
	v_pk_mul_f32 v[4:5], v[104:105], v[104:105]                // 00000000D2A0: D3B14004 1802D168
	v_pk_mul_f32 v[6:7], v[106:107], v[106:107]                // 00000000D2A8: D3B14006 1802D56A
	v_pk_fma_f32 v[4:5], v[4:5], s[78:79], v[8:9]              // 00000000D2B0: D3B04004 1C209D04
	v_pk_fma_f32 v[6:7], v[6:7], s[78:79], v[8:9]              // 00000000D2B8: D3B04006 1C209D06
	v_pk_mul_f32 v[4:5], v[4:5], v[104:105]                    // 00000000D2C0: D3B14004 1802D104
	v_pk_mul_f32 v[6:7], v[6:7], v[106:107]                    // 00000000D2C8: D3B14006 1802D506
	v_pk_mul_f32 v[4:5], v[4:5], s[60:61]                      // 00000000D2D0: D3B14004 18007904
	v_pk_mul_f32 v[6:7], v[6:7], s[60:61]                      // 00000000D2D8: D3B14006 18007906
	v_exp_f32_e32 v4, v4                                       // 00000000D2E0: 7E084104
	v_exp_f32_e32 v5, v5                                       // 00000000D2E4: 7E0A4105
	v_exp_f32_e32 v6, v6                                       // 00000000D2E8: 7E0C4106
	v_exp_f32_e32 v7, v7                                       // 00000000D2EC: 7E0E4107
	v_add_f32_e64 v4, v4, 1.0                                  // 00000000D2F0: D1010004 0001E504
	v_add_f32_e64 v5, v5, 1.0                                  // 00000000D2F8: D1010005 0001E505
	v_add_f32_e64 v6, v6, 1.0                                  // 00000000D300: D1010006 0001E506
	v_add_f32_e64 v7, v7, 1.0                                  // 00000000D308: D1010007 0001E507
	v_rcp_f32_e32 v4, v4                                       // 00000000D310: 7E084504
	v_rcp_f32_e32 v5, v5                                       // 00000000D314: 7E0A4505
	v_rcp_f32_e32 v6, v6                                       // 00000000D318: 7E0C4506
	v_rcp_f32_e32 v7, v7                                       // 00000000D31C: 7E0E4507
	v_mul_f32_e32 v104, v104, v4                               // 00000000D320: 0AD00968
	v_mul_f32_e32 v105, v105, v5                               // 00000000D324: 0AD20B69
	v_mul_f32_e32 v106, v106, v6                               // 00000000D328: 0AD40D6A
	v_mul_f32_e32 v107, v107, v7                               // 00000000D32C: 0AD60F6B
	v_mul_f32_e32 v104, v104, v184                             // 00000000D330: 0AD17168
	v_mul_f32_e32 v105, v105, v185                             // 00000000D334: 0AD37369
	v_mul_f32_e32 v106, v106, v186                             // 00000000D338: 0AD5756A
	v_mul_f32_e32 v107, v107, v187                             // 00000000D33C: 0AD7776B
	v_pk_mul_f32 v[4:5], v[108:109], v[108:109]                // 00000000D340: D3B14004 1802D96C
	v_pk_mul_f32 v[6:7], v[110:111], v[110:111]                // 00000000D348: D3B14006 1802DD6E
	v_pk_fma_f32 v[4:5], v[4:5], s[78:79], v[8:9]              // 00000000D350: D3B04004 1C209D04
	v_pk_fma_f32 v[6:7], v[6:7], s[78:79], v[8:9]              // 00000000D358: D3B04006 1C209D06
	v_pk_mul_f32 v[4:5], v[4:5], v[108:109]                    // 00000000D360: D3B14004 1802D904
	v_pk_mul_f32 v[6:7], v[6:7], v[110:111]                    // 00000000D368: D3B14006 1802DD06
	v_pk_mul_f32 v[4:5], v[4:5], s[60:61]                      // 00000000D370: D3B14004 18007904
	v_pk_mul_f32 v[6:7], v[6:7], s[60:61]                      // 00000000D378: D3B14006 18007906
	v_exp_f32_e32 v4, v4                                       // 00000000D380: 7E084104
	v_exp_f32_e32 v5, v5                                       // 00000000D384: 7E0A4105
	v_exp_f32_e32 v6, v6                                       // 00000000D388: 7E0C4106
	v_exp_f32_e32 v7, v7                                       // 00000000D38C: 7E0E4107
	v_add_f32_e64 v4, v4, 1.0                                  // 00000000D390: D1010004 0001E504
	v_add_f32_e64 v5, v5, 1.0                                  // 00000000D398: D1010005 0001E505
	v_add_f32_e64 v6, v6, 1.0                                  // 00000000D3A0: D1010006 0001E506
	v_add_f32_e64 v7, v7, 1.0                                  // 00000000D3A8: D1010007 0001E507
	v_rcp_f32_e32 v4, v4                                       // 00000000D3B0: 7E084504
	v_rcp_f32_e32 v5, v5                                       // 00000000D3B4: 7E0A4505
	v_rcp_f32_e32 v6, v6                                       // 00000000D3B8: 7E0C4506
	v_rcp_f32_e32 v7, v7                                       // 00000000D3BC: 7E0E4507
	v_mul_f32_e32 v108, v108, v4                               // 00000000D3C0: 0AD8096C
	v_mul_f32_e32 v109, v109, v5                               // 00000000D3C4: 0ADA0B6D
	v_mul_f32_e32 v110, v110, v6                               // 00000000D3C8: 0ADC0D6E
	v_mul_f32_e32 v111, v111, v7                               // 00000000D3CC: 0ADE0F6F
	v_mul_f32_e32 v108, v108, v188                             // 00000000D3D0: 0AD9796C
	v_mul_f32_e32 v109, v109, v189                             // 00000000D3D4: 0ADB7B6D
	v_mul_f32_e32 v110, v110, v190                             // 00000000D3D8: 0ADD7D6E
	v_mul_f32_e32 v111, v111, v191                             // 00000000D3DC: 0ADF7F6F
	v_pk_mul_f32 v[4:5], v[112:113], v[112:113]                // 00000000D3E0: D3B14004 1802E170
	v_pk_mul_f32 v[6:7], v[114:115], v[114:115]                // 00000000D3E8: D3B14006 1802E572
	v_pk_fma_f32 v[4:5], v[4:5], s[78:79], v[8:9]              // 00000000D3F0: D3B04004 1C209D04
	v_pk_fma_f32 v[6:7], v[6:7], s[78:79], v[8:9]              // 00000000D3F8: D3B04006 1C209D06
	v_pk_mul_f32 v[4:5], v[4:5], v[112:113]                    // 00000000D400: D3B14004 1802E104
	v_pk_mul_f32 v[6:7], v[6:7], v[114:115]                    // 00000000D408: D3B14006 1802E506
	v_pk_mul_f32 v[4:5], v[4:5], s[60:61]                      // 00000000D410: D3B14004 18007904
	v_pk_mul_f32 v[6:7], v[6:7], s[60:61]                      // 00000000D418: D3B14006 18007906
	v_exp_f32_e32 v4, v4                                       // 00000000D420: 7E084104
	v_exp_f32_e32 v5, v5                                       // 00000000D424: 7E0A4105
	v_exp_f32_e32 v6, v6                                       // 00000000D428: 7E0C4106
	v_exp_f32_e32 v7, v7                                       // 00000000D42C: 7E0E4107
	v_add_f32_e64 v4, v4, 1.0                                  // 00000000D430: D1010004 0001E504
	v_add_f32_e64 v5, v5, 1.0                                  // 00000000D438: D1010005 0001E505
	v_add_f32_e64 v6, v6, 1.0                                  // 00000000D440: D1010006 0001E506
	v_add_f32_e64 v7, v7, 1.0                                  // 00000000D448: D1010007 0001E507
	v_rcp_f32_e32 v4, v4                                       // 00000000D450: 7E084504
	v_rcp_f32_e32 v5, v5                                       // 00000000D454: 7E0A4505
	v_rcp_f32_e32 v6, v6                                       // 00000000D458: 7E0C4506
	v_rcp_f32_e32 v7, v7                                       // 00000000D45C: 7E0E4507
	v_mul_f32_e32 v112, v112, v4                               // 00000000D460: 0AE00970
	v_mul_f32_e32 v113, v113, v5                               // 00000000D464: 0AE20B71
	v_mul_f32_e32 v114, v114, v6                               // 00000000D468: 0AE40D72
	v_mul_f32_e32 v115, v115, v7                               // 00000000D46C: 0AE60F73
	v_mul_f32_e32 v112, v112, v192                             // 00000000D470: 0AE18170
	v_mul_f32_e32 v113, v113, v193                             // 00000000D474: 0AE38371
	v_mul_f32_e32 v114, v114, v194                             // 00000000D478: 0AE58572
	v_mul_f32_e32 v115, v115, v195                             // 00000000D47C: 0AE78773
	v_pk_mul_f32 v[4:5], v[116:117], v[116:117]                // 00000000D480: D3B14004 1802E974
	v_pk_mul_f32 v[6:7], v[118:119], v[118:119]                // 00000000D488: D3B14006 1802ED76
	v_pk_fma_f32 v[4:5], v[4:5], s[78:79], v[8:9]              // 00000000D490: D3B04004 1C209D04
	v_pk_fma_f32 v[6:7], v[6:7], s[78:79], v[8:9]              // 00000000D498: D3B04006 1C209D06
	v_pk_mul_f32 v[4:5], v[4:5], v[116:117]                    // 00000000D4A0: D3B14004 1802E904
	v_pk_mul_f32 v[6:7], v[6:7], v[118:119]                    // 00000000D4A8: D3B14006 1802ED06
	v_pk_mul_f32 v[4:5], v[4:5], s[60:61]                      // 00000000D4B0: D3B14004 18007904
	v_pk_mul_f32 v[6:7], v[6:7], s[60:61]                      // 00000000D4B8: D3B14006 18007906
	v_exp_f32_e32 v4, v4                                       // 00000000D4C0: 7E084104
	v_exp_f32_e32 v5, v5                                       // 00000000D4C4: 7E0A4105
	v_exp_f32_e32 v6, v6                                       // 00000000D4C8: 7E0C4106
	v_exp_f32_e32 v7, v7                                       // 00000000D4CC: 7E0E4107
	v_add_f32_e64 v4, v4, 1.0                                  // 00000000D4D0: D1010004 0001E504
	v_add_f32_e64 v5, v5, 1.0                                  // 00000000D4D8: D1010005 0001E505
	v_add_f32_e64 v6, v6, 1.0                                  // 00000000D4E0: D1010006 0001E506
	v_add_f32_e64 v7, v7, 1.0                                  // 00000000D4E8: D1010007 0001E507
	v_rcp_f32_e32 v4, v4                                       // 00000000D4F0: 7E084504
	v_rcp_f32_e32 v5, v5                                       // 00000000D4F4: 7E0A4505
	v_rcp_f32_e32 v6, v6                                       // 00000000D4F8: 7E0C4506
	v_rcp_f32_e32 v7, v7                                       // 00000000D4FC: 7E0E4507
	v_mul_f32_e32 v116, v116, v4                               // 00000000D500: 0AE80974
	v_mul_f32_e32 v117, v117, v5                               // 00000000D504: 0AEA0B75
	v_mul_f32_e32 v118, v118, v6                               // 00000000D508: 0AEC0D76
	v_mul_f32_e32 v119, v119, v7                               // 00000000D50C: 0AEE0F77
	v_mul_f32_e32 v116, v116, v196                             // 00000000D510: 0AE98974
	v_mul_f32_e32 v117, v117, v197                             // 00000000D514: 0AEB8B75
	v_mul_f32_e32 v118, v118, v198                             // 00000000D518: 0AED8D76
	v_mul_f32_e32 v119, v119, v199                             // 00000000D51C: 0AEF8F77
	v_pk_mul_f32 v[4:5], v[120:121], v[120:121]                // 00000000D520: D3B14004 1802F178
	v_pk_mul_f32 v[6:7], v[122:123], v[122:123]                // 00000000D528: D3B14006 1802F57A
	v_pk_fma_f32 v[4:5], v[4:5], s[78:79], v[8:9]              // 00000000D530: D3B04004 1C209D04
	v_pk_fma_f32 v[6:7], v[6:7], s[78:79], v[8:9]              // 00000000D538: D3B04006 1C209D06
	v_pk_mul_f32 v[4:5], v[4:5], v[120:121]                    // 00000000D540: D3B14004 1802F104
	v_pk_mul_f32 v[6:7], v[6:7], v[122:123]                    // 00000000D548: D3B14006 1802F506
	v_pk_mul_f32 v[4:5], v[4:5], s[60:61]                      // 00000000D550: D3B14004 18007904
	v_pk_mul_f32 v[6:7], v[6:7], s[60:61]                      // 00000000D558: D3B14006 18007906
	v_exp_f32_e32 v4, v4                                       // 00000000D560: 7E084104
	v_exp_f32_e32 v5, v5                                       // 00000000D564: 7E0A4105
	v_exp_f32_e32 v6, v6                                       // 00000000D568: 7E0C4106
	v_exp_f32_e32 v7, v7                                       // 00000000D56C: 7E0E4107
	v_add_f32_e64 v4, v4, 1.0                                  // 00000000D570: D1010004 0001E504
	v_add_f32_e64 v5, v5, 1.0                                  // 00000000D578: D1010005 0001E505
	v_add_f32_e64 v6, v6, 1.0                                  // 00000000D580: D1010006 0001E506
	v_add_f32_e64 v7, v7, 1.0                                  // 00000000D588: D1010007 0001E507
	v_rcp_f32_e32 v4, v4                                       // 00000000D590: 7E084504
	v_rcp_f32_e32 v5, v5                                       // 00000000D594: 7E0A4505
	v_rcp_f32_e32 v6, v6                                       // 00000000D598: 7E0C4506
	v_rcp_f32_e32 v7, v7                                       // 00000000D59C: 7E0E4507
	v_mul_f32_e32 v120, v120, v4                               // 00000000D5A0: 0AF00978
	v_mul_f32_e32 v121, v121, v5                               // 00000000D5A4: 0AF20B79
	v_mul_f32_e32 v122, v122, v6                               // 00000000D5A8: 0AF40D7A
	v_mul_f32_e32 v123, v123, v7                               // 00000000D5AC: 0AF60F7B
	v_mul_f32_e32 v120, v120, v200                             // 00000000D5B0: 0AF19178
	v_mul_f32_e32 v121, v121, v201                             // 00000000D5B4: 0AF39379
	v_mul_f32_e32 v122, v122, v202                             // 00000000D5B8: 0AF5957A
	v_mul_f32_e32 v123, v123, v203                             // 00000000D5BC: 0AF7977B
	v_pk_mul_f32 v[4:5], v[124:125], v[124:125]                // 00000000D5C0: D3B14004 1802F97C
	v_pk_mul_f32 v[6:7], v[126:127], v[126:127]                // 00000000D5C8: D3B14006 1802FD7E
	v_pk_fma_f32 v[4:5], v[4:5], s[78:79], v[8:9]              // 00000000D5D0: D3B04004 1C209D04
	v_pk_fma_f32 v[6:7], v[6:7], s[78:79], v[8:9]              // 00000000D5D8: D3B04006 1C209D06
	v_pk_mul_f32 v[4:5], v[4:5], v[124:125]                    // 00000000D5E0: D3B14004 1802F904
	v_pk_mul_f32 v[6:7], v[6:7], v[126:127]                    // 00000000D5E8: D3B14006 1802FD06
	v_pk_mul_f32 v[4:5], v[4:5], s[60:61]                      // 00000000D5F0: D3B14004 18007904
	v_pk_mul_f32 v[6:7], v[6:7], s[60:61]                      // 00000000D5F8: D3B14006 18007906
	v_exp_f32_e32 v4, v4                                       // 00000000D600: 7E084104
	v_exp_f32_e32 v5, v5                                       // 00000000D604: 7E0A4105
	v_exp_f32_e32 v6, v6                                       // 00000000D608: 7E0C4106
	v_exp_f32_e32 v7, v7                                       // 00000000D60C: 7E0E4107
	v_add_f32_e64 v4, v4, 1.0                                  // 00000000D610: D1010004 0001E504
	v_add_f32_e64 v5, v5, 1.0                                  // 00000000D618: D1010005 0001E505
	v_add_f32_e64 v6, v6, 1.0                                  // 00000000D620: D1010006 0001E506
	v_add_f32_e64 v7, v7, 1.0                                  // 00000000D628: D1010007 0001E507
	v_rcp_f32_e32 v4, v4                                       // 00000000D630: 7E084504
	v_rcp_f32_e32 v5, v5                                       // 00000000D634: 7E0A4505
	v_rcp_f32_e32 v6, v6                                       // 00000000D638: 7E0C4506
	v_rcp_f32_e32 v7, v7                                       // 00000000D63C: 7E0E4507
	v_mul_f32_e32 v124, v124, v4                               // 00000000D640: 0AF8097C
	v_mul_f32_e32 v125, v125, v5                               // 00000000D644: 0AFA0B7D
	v_mul_f32_e32 v126, v126, v6                               // 00000000D648: 0AFC0D7E
	v_mul_f32_e32 v127, v127, v7                               // 00000000D64C: 0AFE0F7F
	v_mul_f32_e32 v124, v124, v204                             // 00000000D650: 0AF9997C
	v_mul_f32_e32 v125, v125, v205                             // 00000000D654: 0AFB9B7D
	v_mul_f32_e32 v126, v126, v206                             // 00000000D658: 0AFD9D7E
	v_mul_f32_e32 v127, v127, v207                             // 00000000D65C: 0AFF9F7F
	v_pk_mul_f32 v[4:5], v[128:129], v[128:129]                // 00000000D660: D3B14004 18030180
	v_pk_mul_f32 v[6:7], v[130:131], v[130:131]                // 00000000D668: D3B14006 18030582
	v_pk_fma_f32 v[4:5], v[4:5], s[78:79], v[8:9]              // 00000000D670: D3B04004 1C209D04
	v_pk_fma_f32 v[6:7], v[6:7], s[78:79], v[8:9]              // 00000000D678: D3B04006 1C209D06
	v_pk_mul_f32 v[4:5], v[4:5], v[128:129]                    // 00000000D680: D3B14004 18030104
	v_pk_mul_f32 v[6:7], v[6:7], v[130:131]                    // 00000000D688: D3B14006 18030506
	v_pk_mul_f32 v[4:5], v[4:5], s[60:61]                      // 00000000D690: D3B14004 18007904
	v_pk_mul_f32 v[6:7], v[6:7], s[60:61]                      // 00000000D698: D3B14006 18007906
	v_exp_f32_e32 v4, v4                                       // 00000000D6A0: 7E084104
	v_exp_f32_e32 v5, v5                                       // 00000000D6A4: 7E0A4105
	v_exp_f32_e32 v6, v6                                       // 00000000D6A8: 7E0C4106
	v_exp_f32_e32 v7, v7                                       // 00000000D6AC: 7E0E4107
	v_add_f32_e64 v4, v4, 1.0                                  // 00000000D6B0: D1010004 0001E504
	v_add_f32_e64 v5, v5, 1.0                                  // 00000000D6B8: D1010005 0001E505
	v_add_f32_e64 v6, v6, 1.0                                  // 00000000D6C0: D1010006 0001E506
	v_add_f32_e64 v7, v7, 1.0                                  // 00000000D6C8: D1010007 0001E507
	v_rcp_f32_e32 v4, v4                                       // 00000000D6D0: 7E084504
	v_rcp_f32_e32 v5, v5                                       // 00000000D6D4: 7E0A4505
	v_rcp_f32_e32 v6, v6                                       // 00000000D6D8: 7E0C4506
	v_rcp_f32_e32 v7, v7                                       // 00000000D6DC: 7E0E4507
	v_mul_f32_e32 v128, v128, v4                               // 00000000D6E0: 0B000980
	v_mul_f32_e32 v129, v129, v5                               // 00000000D6E4: 0B020B81
	v_mul_f32_e32 v130, v130, v6                               // 00000000D6E8: 0B040D82
	v_mul_f32_e32 v131, v131, v7                               // 00000000D6EC: 0B060F83
	v_mul_f32_e32 v128, v128, v208                             // 00000000D6F0: 0B01A180
	v_mul_f32_e32 v129, v129, v209                             // 00000000D6F4: 0B03A381
	v_mul_f32_e32 v130, v130, v210                             // 00000000D6F8: 0B05A582
	v_mul_f32_e32 v131, v131, v211                             // 00000000D6FC: 0B07A783
	v_pk_mul_f32 v[4:5], v[132:133], v[132:133]                // 00000000D700: D3B14004 18030984
	v_pk_mul_f32 v[6:7], v[134:135], v[134:135]                // 00000000D708: D3B14006 18030D86
	v_pk_fma_f32 v[4:5], v[4:5], s[78:79], v[8:9]              // 00000000D710: D3B04004 1C209D04
	v_pk_fma_f32 v[6:7], v[6:7], s[78:79], v[8:9]              // 00000000D718: D3B04006 1C209D06
	v_pk_mul_f32 v[4:5], v[4:5], v[132:133]                    // 00000000D720: D3B14004 18030904
	v_pk_mul_f32 v[6:7], v[6:7], v[134:135]                    // 00000000D728: D3B14006 18030D06
	v_pk_mul_f32 v[4:5], v[4:5], s[60:61]                      // 00000000D730: D3B14004 18007904
	v_pk_mul_f32 v[6:7], v[6:7], s[60:61]                      // 00000000D738: D3B14006 18007906
	v_exp_f32_e32 v4, v4                                       // 00000000D740: 7E084104
	v_exp_f32_e32 v5, v5                                       // 00000000D744: 7E0A4105
	v_exp_f32_e32 v6, v6                                       // 00000000D748: 7E0C4106
	v_exp_f32_e32 v7, v7                                       // 00000000D74C: 7E0E4107
	v_add_f32_e64 v4, v4, 1.0                                  // 00000000D750: D1010004 0001E504
	v_add_f32_e64 v5, v5, 1.0                                  // 00000000D758: D1010005 0001E505
	v_add_f32_e64 v6, v6, 1.0                                  // 00000000D760: D1010006 0001E506
	v_add_f32_e64 v7, v7, 1.0                                  // 00000000D768: D1010007 0001E507
	v_rcp_f32_e32 v4, v4                                       // 00000000D770: 7E084504
	v_rcp_f32_e32 v5, v5                                       // 00000000D774: 7E0A4505
	v_rcp_f32_e32 v6, v6                                       // 00000000D778: 7E0C4506
	v_rcp_f32_e32 v7, v7                                       // 00000000D77C: 7E0E4507
	v_mul_f32_e32 v132, v132, v4                               // 00000000D780: 0B080984
	v_mul_f32_e32 v133, v133, v5                               // 00000000D784: 0B0A0B85
	v_mul_f32_e32 v134, v134, v6                               // 00000000D788: 0B0C0D86
	v_mul_f32_e32 v135, v135, v7                               // 00000000D78C: 0B0E0F87
	v_mul_f32_e32 v132, v132, v212                             // 00000000D790: 0B09A984
	v_mul_f32_e32 v133, v133, v213                             // 00000000D794: 0B0BAB85
	v_mul_f32_e32 v134, v134, v214                             // 00000000D798: 0B0DAD86
	v_mul_f32_e32 v135, v135, v215                             // 00000000D79C: 0B0FAF87
	v_pk_mul_f32 v[4:5], v[136:137], v[136:137]                // 00000000D7A0: D3B14004 18031188
	v_pk_mul_f32 v[6:7], v[138:139], v[138:139]                // 00000000D7A8: D3B14006 1803158A
	v_pk_fma_f32 v[4:5], v[4:5], s[78:79], v[8:9]              // 00000000D7B0: D3B04004 1C209D04
	v_pk_fma_f32 v[6:7], v[6:7], s[78:79], v[8:9]              // 00000000D7B8: D3B04006 1C209D06
	v_pk_mul_f32 v[4:5], v[4:5], v[136:137]                    // 00000000D7C0: D3B14004 18031104
	v_pk_mul_f32 v[6:7], v[6:7], v[138:139]                    // 00000000D7C8: D3B14006 18031506
	v_pk_mul_f32 v[4:5], v[4:5], s[60:61]                      // 00000000D7D0: D3B14004 18007904
	v_pk_mul_f32 v[6:7], v[6:7], s[60:61]                      // 00000000D7D8: D3B14006 18007906
	v_exp_f32_e32 v4, v4                                       // 00000000D7E0: 7E084104
	v_exp_f32_e32 v5, v5                                       // 00000000D7E4: 7E0A4105
	v_exp_f32_e32 v6, v6                                       // 00000000D7E8: 7E0C4106
	v_exp_f32_e32 v7, v7                                       // 00000000D7EC: 7E0E4107
	v_add_f32_e64 v4, v4, 1.0                                  // 00000000D7F0: D1010004 0001E504
	v_add_f32_e64 v5, v5, 1.0                                  // 00000000D7F8: D1010005 0001E505
	v_add_f32_e64 v6, v6, 1.0                                  // 00000000D800: D1010006 0001E506
	v_add_f32_e64 v7, v7, 1.0                                  // 00000000D808: D1010007 0001E507
	v_rcp_f32_e32 v4, v4                                       // 00000000D810: 7E084504
	v_rcp_f32_e32 v5, v5                                       // 00000000D814: 7E0A4505
	v_rcp_f32_e32 v6, v6                                       // 00000000D818: 7E0C4506
	v_rcp_f32_e32 v7, v7                                       // 00000000D81C: 7E0E4507
	v_mul_f32_e32 v136, v136, v4                               // 00000000D820: 0B100988
	v_mul_f32_e32 v137, v137, v5                               // 00000000D824: 0B120B89
	v_mul_f32_e32 v138, v138, v6                               // 00000000D828: 0B140D8A
	v_mul_f32_e32 v139, v139, v7                               // 00000000D82C: 0B160F8B
	v_mul_f32_e32 v136, v136, v216                             // 00000000D830: 0B11B188
	v_mul_f32_e32 v137, v137, v217                             // 00000000D834: 0B13B389
	v_mul_f32_e32 v138, v138, v218                             // 00000000D838: 0B15B58A
	v_mul_f32_e32 v139, v139, v219                             // 00000000D83C: 0B17B78B
	v_pk_mul_f32 v[4:5], v[140:141], v[140:141]                // 00000000D840: D3B14004 1803198C
	v_pk_mul_f32 v[6:7], v[142:143], v[142:143]                // 00000000D848: D3B14006 18031D8E
	v_pk_fma_f32 v[4:5], v[4:5], s[78:79], v[8:9]              // 00000000D850: D3B04004 1C209D04
	v_pk_fma_f32 v[6:7], v[6:7], s[78:79], v[8:9]              // 00000000D858: D3B04006 1C209D06
	v_pk_mul_f32 v[4:5], v[4:5], v[140:141]                    // 00000000D860: D3B14004 18031904
	v_pk_mul_f32 v[6:7], v[6:7], v[142:143]                    // 00000000D868: D3B14006 18031D06
	v_pk_mul_f32 v[4:5], v[4:5], s[60:61]                      // 00000000D870: D3B14004 18007904
	v_pk_mul_f32 v[6:7], v[6:7], s[60:61]                      // 00000000D878: D3B14006 18007906
	v_exp_f32_e32 v4, v4                                       // 00000000D880: 7E084104
	v_exp_f32_e32 v5, v5                                       // 00000000D884: 7E0A4105
	v_exp_f32_e32 v6, v6                                       // 00000000D888: 7E0C4106
	v_exp_f32_e32 v7, v7                                       // 00000000D88C: 7E0E4107
	v_add_f32_e64 v4, v4, 1.0                                  // 00000000D890: D1010004 0001E504
	v_add_f32_e64 v5, v5, 1.0                                  // 00000000D898: D1010005 0001E505
	v_add_f32_e64 v6, v6, 1.0                                  // 00000000D8A0: D1010006 0001E506
	v_add_f32_e64 v7, v7, 1.0                                  // 00000000D8A8: D1010007 0001E507
	v_rcp_f32_e32 v4, v4                                       // 00000000D8B0: 7E084504
	v_rcp_f32_e32 v5, v5                                       // 00000000D8B4: 7E0A4505
	v_rcp_f32_e32 v6, v6                                       // 00000000D8B8: 7E0C4506
	v_rcp_f32_e32 v7, v7                                       // 00000000D8BC: 7E0E4507
	v_mul_f32_e32 v140, v140, v4                               // 00000000D8C0: 0B18098C
	v_mul_f32_e32 v141, v141, v5                               // 00000000D8C4: 0B1A0B8D
	v_mul_f32_e32 v142, v142, v6                               // 00000000D8C8: 0B1C0D8E
	v_mul_f32_e32 v143, v143, v7                               // 00000000D8CC: 0B1E0F8F
	v_mul_f32_e32 v140, v140, v220                             // 00000000D8D0: 0B19B98C
	v_mul_f32_e32 v141, v141, v221                             // 00000000D8D4: 0B1BBB8D
	v_mul_f32_e32 v142, v142, v222                             // 00000000D8D8: 0B1DBD8E
	v_mul_f32_e32 v143, v143, v223                             // 00000000D8DC: 0B1FBF8F
	v_pk_mul_f32 v[4:5], v[144:145], v[144:145]                // 00000000D8E0: D3B14004 18032190
	v_pk_mul_f32 v[6:7], v[146:147], v[146:147]                // 00000000D8E8: D3B14006 18032592
	v_pk_fma_f32 v[4:5], v[4:5], s[78:79], v[8:9]              // 00000000D8F0: D3B04004 1C209D04
	v_pk_fma_f32 v[6:7], v[6:7], s[78:79], v[8:9]              // 00000000D8F8: D3B04006 1C209D06
	v_pk_mul_f32 v[4:5], v[4:5], v[144:145]                    // 00000000D900: D3B14004 18032104
	v_pk_mul_f32 v[6:7], v[6:7], v[146:147]                    // 00000000D908: D3B14006 18032506
	v_pk_mul_f32 v[4:5], v[4:5], s[60:61]                      // 00000000D910: D3B14004 18007904
	v_pk_mul_f32 v[6:7], v[6:7], s[60:61]                      // 00000000D918: D3B14006 18007906
	v_exp_f32_e32 v4, v4                                       // 00000000D920: 7E084104
	v_exp_f32_e32 v5, v5                                       // 00000000D924: 7E0A4105
	v_exp_f32_e32 v6, v6                                       // 00000000D928: 7E0C4106
	v_exp_f32_e32 v7, v7                                       // 00000000D92C: 7E0E4107
	v_add_f32_e64 v4, v4, 1.0                                  // 00000000D930: D1010004 0001E504
	v_add_f32_e64 v5, v5, 1.0                                  // 00000000D938: D1010005 0001E505
	v_add_f32_e64 v6, v6, 1.0                                  // 00000000D940: D1010006 0001E506
	v_add_f32_e64 v7, v7, 1.0                                  // 00000000D948: D1010007 0001E507
	v_rcp_f32_e32 v4, v4                                       // 00000000D950: 7E084504
	v_rcp_f32_e32 v5, v5                                       // 00000000D954: 7E0A4505
	v_rcp_f32_e32 v6, v6                                       // 00000000D958: 7E0C4506
	v_rcp_f32_e32 v7, v7                                       // 00000000D95C: 7E0E4507
	v_mul_f32_e32 v144, v144, v4                               // 00000000D960: 0B200990
	v_mul_f32_e32 v145, v145, v5                               // 00000000D964: 0B220B91
	v_mul_f32_e32 v146, v146, v6                               // 00000000D968: 0B240D92
	v_mul_f32_e32 v147, v147, v7                               // 00000000D96C: 0B260F93
	v_mul_f32_e32 v144, v144, v224                             // 00000000D970: 0B21C190
	v_mul_f32_e32 v145, v145, v225                             // 00000000D974: 0B23C391
	v_mul_f32_e32 v146, v146, v226                             // 00000000D978: 0B25C592
	v_mul_f32_e32 v147, v147, v227                             // 00000000D97C: 0B27C793
	v_pk_mul_f32 v[4:5], v[148:149], v[148:149]                // 00000000D980: D3B14004 18032994
	v_pk_mul_f32 v[6:7], v[150:151], v[150:151]                // 00000000D988: D3B14006 18032D96
	v_pk_fma_f32 v[4:5], v[4:5], s[78:79], v[8:9]              // 00000000D990: D3B04004 1C209D04
	v_pk_fma_f32 v[6:7], v[6:7], s[78:79], v[8:9]              // 00000000D998: D3B04006 1C209D06
	v_pk_mul_f32 v[4:5], v[4:5], v[148:149]                    // 00000000D9A0: D3B14004 18032904
	v_pk_mul_f32 v[6:7], v[6:7], v[150:151]                    // 00000000D9A8: D3B14006 18032D06
	v_pk_mul_f32 v[4:5], v[4:5], s[60:61]                      // 00000000D9B0: D3B14004 18007904
	v_pk_mul_f32 v[6:7], v[6:7], s[60:61]                      // 00000000D9B8: D3B14006 18007906
	v_exp_f32_e32 v4, v4                                       // 00000000D9C0: 7E084104
	v_exp_f32_e32 v5, v5                                       // 00000000D9C4: 7E0A4105
	v_exp_f32_e32 v6, v6                                       // 00000000D9C8: 7E0C4106
	v_exp_f32_e32 v7, v7                                       // 00000000D9CC: 7E0E4107
	v_add_f32_e64 v4, v4, 1.0                                  // 00000000D9D0: D1010004 0001E504
	v_add_f32_e64 v5, v5, 1.0                                  // 00000000D9D8: D1010005 0001E505
	v_add_f32_e64 v6, v6, 1.0                                  // 00000000D9E0: D1010006 0001E506
	v_add_f32_e64 v7, v7, 1.0                                  // 00000000D9E8: D1010007 0001E507
	v_rcp_f32_e32 v4, v4                                       // 00000000D9F0: 7E084504
	v_rcp_f32_e32 v5, v5                                       // 00000000D9F4: 7E0A4505
	v_rcp_f32_e32 v6, v6                                       // 00000000D9F8: 7E0C4506
	v_rcp_f32_e32 v7, v7                                       // 00000000D9FC: 7E0E4507
	v_mul_f32_e32 v148, v148, v4                               // 00000000DA00: 0B280994
	v_mul_f32_e32 v149, v149, v5                               // 00000000DA04: 0B2A0B95
	v_mul_f32_e32 v150, v150, v6                               // 00000000DA08: 0B2C0D96
	v_mul_f32_e32 v151, v151, v7                               // 00000000DA0C: 0B2E0F97
	v_mul_f32_e32 v148, v148, v228                             // 00000000DA10: 0B29C994
	v_mul_f32_e32 v149, v149, v229                             // 00000000DA14: 0B2BCB95
	v_mul_f32_e32 v150, v150, v230                             // 00000000DA18: 0B2DCD96
	v_mul_f32_e32 v151, v151, v231                             // 00000000DA1C: 0B2FCF97
	v_pk_mul_f32 v[4:5], v[152:153], v[152:153]                // 00000000DA20: D3B14004 18033198
	v_pk_mul_f32 v[6:7], v[154:155], v[154:155]                // 00000000DA28: D3B14006 1803359A
	v_pk_fma_f32 v[4:5], v[4:5], s[78:79], v[8:9]              // 00000000DA30: D3B04004 1C209D04
	v_pk_fma_f32 v[6:7], v[6:7], s[78:79], v[8:9]              // 00000000DA38: D3B04006 1C209D06
	v_pk_mul_f32 v[4:5], v[4:5], v[152:153]                    // 00000000DA40: D3B14004 18033104
	v_pk_mul_f32 v[6:7], v[6:7], v[154:155]                    // 00000000DA48: D3B14006 18033506
	v_pk_mul_f32 v[4:5], v[4:5], s[60:61]                      // 00000000DA50: D3B14004 18007904
	v_pk_mul_f32 v[6:7], v[6:7], s[60:61]                      // 00000000DA58: D3B14006 18007906
	v_exp_f32_e32 v4, v4                                       // 00000000DA60: 7E084104
	v_exp_f32_e32 v5, v5                                       // 00000000DA64: 7E0A4105
	v_exp_f32_e32 v6, v6                                       // 00000000DA68: 7E0C4106
	v_exp_f32_e32 v7, v7                                       // 00000000DA6C: 7E0E4107
	v_add_f32_e64 v4, v4, 1.0                                  // 00000000DA70: D1010004 0001E504
	v_add_f32_e64 v5, v5, 1.0                                  // 00000000DA78: D1010005 0001E505
	v_add_f32_e64 v6, v6, 1.0                                  // 00000000DA80: D1010006 0001E506
	v_add_f32_e64 v7, v7, 1.0                                  // 00000000DA88: D1010007 0001E507
	v_rcp_f32_e32 v4, v4                                       // 00000000DA90: 7E084504
	v_rcp_f32_e32 v5, v5                                       // 00000000DA94: 7E0A4505
	v_rcp_f32_e32 v6, v6                                       // 00000000DA98: 7E0C4506
	v_rcp_f32_e32 v7, v7                                       // 00000000DA9C: 7E0E4507
	v_mul_f32_e32 v152, v152, v4                               // 00000000DAA0: 0B300998
	v_mul_f32_e32 v153, v153, v5                               // 00000000DAA4: 0B320B99
	v_mul_f32_e32 v154, v154, v6                               // 00000000DAA8: 0B340D9A
	v_mul_f32_e32 v155, v155, v7                               // 00000000DAAC: 0B360F9B
	v_mul_f32_e32 v152, v152, v232                             // 00000000DAB0: 0B31D198
	v_mul_f32_e32 v153, v153, v233                             // 00000000DAB4: 0B33D399
	v_mul_f32_e32 v154, v154, v234                             // 00000000DAB8: 0B35D59A
	v_mul_f32_e32 v155, v155, v235                             // 00000000DABC: 0B37D79B
	v_pk_mul_f32 v[4:5], v[156:157], v[156:157]                // 00000000DAC0: D3B14004 1803399C
	v_pk_mul_f32 v[6:7], v[158:159], v[158:159]                // 00000000DAC8: D3B14006 18033D9E
	v_pk_fma_f32 v[4:5], v[4:5], s[78:79], v[8:9]              // 00000000DAD0: D3B04004 1C209D04
	v_pk_fma_f32 v[6:7], v[6:7], s[78:79], v[8:9]              // 00000000DAD8: D3B04006 1C209D06
	v_pk_mul_f32 v[4:5], v[4:5], v[156:157]                    // 00000000DAE0: D3B14004 18033904
	v_pk_mul_f32 v[6:7], v[6:7], v[158:159]                    // 00000000DAE8: D3B14006 18033D06
	v_pk_mul_f32 v[4:5], v[4:5], s[60:61]                      // 00000000DAF0: D3B14004 18007904
	v_pk_mul_f32 v[6:7], v[6:7], s[60:61]                      // 00000000DAF8: D3B14006 18007906
	v_exp_f32_e32 v4, v4                                       // 00000000DB00: 7E084104
	v_exp_f32_e32 v5, v5                                       // 00000000DB04: 7E0A4105
	v_exp_f32_e32 v6, v6                                       // 00000000DB08: 7E0C4106
	v_exp_f32_e32 v7, v7                                       // 00000000DB0C: 7E0E4107
	v_add_f32_e64 v4, v4, 1.0                                  // 00000000DB10: D1010004 0001E504
	v_add_f32_e64 v5, v5, 1.0                                  // 00000000DB18: D1010005 0001E505
	v_add_f32_e64 v6, v6, 1.0                                  // 00000000DB20: D1010006 0001E506
	v_add_f32_e64 v7, v7, 1.0                                  // 00000000DB28: D1010007 0001E507
	v_rcp_f32_e32 v4, v4                                       // 00000000DB30: 7E084504
	v_rcp_f32_e32 v5, v5                                       // 00000000DB34: 7E0A4505
	v_rcp_f32_e32 v6, v6                                       // 00000000DB38: 7E0C4506
	v_rcp_f32_e32 v7, v7                                       // 00000000DB3C: 7E0E4507
	v_mul_f32_e32 v156, v156, v4                               // 00000000DB40: 0B38099C
	v_mul_f32_e32 v157, v157, v5                               // 00000000DB44: 0B3A0B9D
	v_mul_f32_e32 v158, v158, v6                               // 00000000DB48: 0B3C0D9E
	v_mul_f32_e32 v159, v159, v7                               // 00000000DB4C: 0B3E0F9F
	v_mul_f32_e32 v156, v156, v236                             // 00000000DB50: 0B39D99C
	v_mul_f32_e32 v157, v157, v237                             // 00000000DB54: 0B3BDB9D
	v_mul_f32_e32 v158, v158, v238                             // 00000000DB58: 0B3DDD9E
	v_mul_f32_e32 v159, v159, v239                             // 00000000DB5C: 0B3FDF9F
	v_pk_mul_f32 v[4:5], v[160:161], v[160:161]                // 00000000DB60: D3B14004 180341A0
	v_pk_mul_f32 v[6:7], v[162:163], v[162:163]                // 00000000DB68: D3B14006 180345A2
	v_pk_fma_f32 v[4:5], v[4:5], s[78:79], v[8:9]              // 00000000DB70: D3B04004 1C209D04
	v_pk_fma_f32 v[6:7], v[6:7], s[78:79], v[8:9]              // 00000000DB78: D3B04006 1C209D06
	v_pk_mul_f32 v[4:5], v[4:5], v[160:161]                    // 00000000DB80: D3B14004 18034104
	v_pk_mul_f32 v[6:7], v[6:7], v[162:163]                    // 00000000DB88: D3B14006 18034506
	v_pk_mul_f32 v[4:5], v[4:5], s[60:61]                      // 00000000DB90: D3B14004 18007904
	v_pk_mul_f32 v[6:7], v[6:7], s[60:61]                      // 00000000DB98: D3B14006 18007906
	v_exp_f32_e32 v4, v4                                       // 00000000DBA0: 7E084104
	v_exp_f32_e32 v5, v5                                       // 00000000DBA4: 7E0A4105
	v_exp_f32_e32 v6, v6                                       // 00000000DBA8: 7E0C4106
	v_exp_f32_e32 v7, v7                                       // 00000000DBAC: 7E0E4107
	v_add_f32_e64 v4, v4, 1.0                                  // 00000000DBB0: D1010004 0001E504
	v_add_f32_e64 v5, v5, 1.0                                  // 00000000DBB8: D1010005 0001E505
	v_add_f32_e64 v6, v6, 1.0                                  // 00000000DBC0: D1010006 0001E506
	v_add_f32_e64 v7, v7, 1.0                                  // 00000000DBC8: D1010007 0001E507
	v_rcp_f32_e32 v4, v4                                       // 00000000DBD0: 7E084504
	v_rcp_f32_e32 v5, v5                                       // 00000000DBD4: 7E0A4505
	v_rcp_f32_e32 v6, v6                                       // 00000000DBD8: 7E0C4506
	v_rcp_f32_e32 v7, v7                                       // 00000000DBDC: 7E0E4507
	v_mul_f32_e32 v160, v160, v4                               // 00000000DBE0: 0B4009A0
	v_mul_f32_e32 v161, v161, v5                               // 00000000DBE4: 0B420BA1
	v_mul_f32_e32 v162, v162, v6                               // 00000000DBE8: 0B440DA2
	v_mul_f32_e32 v163, v163, v7                               // 00000000DBEC: 0B460FA3
	v_mul_f32_e32 v160, v160, v240                             // 00000000DBF0: 0B41E1A0
	v_mul_f32_e32 v161, v161, v241                             // 00000000DBF4: 0B43E3A1
	v_mul_f32_e32 v162, v162, v242                             // 00000000DBF8: 0B45E5A2
	v_mul_f32_e32 v163, v163, v243                             // 00000000DBFC: 0B47E7A3
	v_pk_mul_f32 v[4:5], v[164:165], v[164:165]                // 00000000DC00: D3B14004 180349A4
	v_pk_mul_f32 v[6:7], v[166:167], v[166:167]                // 00000000DC08: D3B14006 18034DA6
	v_pk_fma_f32 v[4:5], v[4:5], s[78:79], v[8:9]              // 00000000DC10: D3B04004 1C209D04
	v_pk_fma_f32 v[6:7], v[6:7], s[78:79], v[8:9]              // 00000000DC18: D3B04006 1C209D06
	v_pk_mul_f32 v[4:5], v[4:5], v[164:165]                    // 00000000DC20: D3B14004 18034904
	v_pk_mul_f32 v[6:7], v[6:7], v[166:167]                    // 00000000DC28: D3B14006 18034D06
	v_pk_mul_f32 v[4:5], v[4:5], s[60:61]                      // 00000000DC30: D3B14004 18007904
	v_pk_mul_f32 v[6:7], v[6:7], s[60:61]                      // 00000000DC38: D3B14006 18007906
	v_exp_f32_e32 v4, v4                                       // 00000000DC40: 7E084104
	v_exp_f32_e32 v5, v5                                       // 00000000DC44: 7E0A4105
	v_exp_f32_e32 v6, v6                                       // 00000000DC48: 7E0C4106
	v_exp_f32_e32 v7, v7                                       // 00000000DC4C: 7E0E4107
	v_add_f32_e64 v4, v4, 1.0                                  // 00000000DC50: D1010004 0001E504
	v_add_f32_e64 v5, v5, 1.0                                  // 00000000DC58: D1010005 0001E505
	v_add_f32_e64 v6, v6, 1.0                                  // 00000000DC60: D1010006 0001E506
	v_add_f32_e64 v7, v7, 1.0                                  // 00000000DC68: D1010007 0001E507
	v_rcp_f32_e32 v4, v4                                       // 00000000DC70: 7E084504
	v_rcp_f32_e32 v5, v5                                       // 00000000DC74: 7E0A4505
	v_rcp_f32_e32 v6, v6                                       // 00000000DC78: 7E0C4506
	v_rcp_f32_e32 v7, v7                                       // 00000000DC7C: 7E0E4507
	v_mul_f32_e32 v164, v164, v4                               // 00000000DC80: 0B4809A4
	v_mul_f32_e32 v165, v165, v5                               // 00000000DC84: 0B4A0BA5
	v_mul_f32_e32 v166, v166, v6                               // 00000000DC88: 0B4C0DA6
	v_mul_f32_e32 v167, v167, v7                               // 00000000DC8C: 0B4E0FA7
	v_mul_f32_e32 v164, v164, v244                             // 00000000DC90: 0B49E9A4
	v_mul_f32_e32 v165, v165, v245                             // 00000000DC94: 0B4BEBA5
	v_mul_f32_e32 v166, v166, v246                             // 00000000DC98: 0B4DEDA6
	v_mul_f32_e32 v167, v167, v247                             // 00000000DC9C: 0B4FEFA7
	v_pk_mul_f32 v[4:5], v[168:169], v[168:169]                // 00000000DCA0: D3B14004 180351A8
	v_pk_mul_f32 v[6:7], v[170:171], v[170:171]                // 00000000DCA8: D3B14006 180355AA
	v_pk_fma_f32 v[4:5], v[4:5], s[78:79], v[8:9]              // 00000000DCB0: D3B04004 1C209D04
	v_pk_fma_f32 v[6:7], v[6:7], s[78:79], v[8:9]              // 00000000DCB8: D3B04006 1C209D06
	v_pk_mul_f32 v[4:5], v[4:5], v[168:169]                    // 00000000DCC0: D3B14004 18035104
	v_pk_mul_f32 v[6:7], v[6:7], v[170:171]                    // 00000000DCC8: D3B14006 18035506
	v_pk_mul_f32 v[4:5], v[4:5], s[60:61]                      // 00000000DCD0: D3B14004 18007904
	v_pk_mul_f32 v[6:7], v[6:7], s[60:61]                      // 00000000DCD8: D3B14006 18007906
	v_exp_f32_e32 v4, v4                                       // 00000000DCE0: 7E084104
	v_exp_f32_e32 v5, v5                                       // 00000000DCE4: 7E0A4105
	v_exp_f32_e32 v6, v6                                       // 00000000DCE8: 7E0C4106
	v_exp_f32_e32 v7, v7                                       // 00000000DCEC: 7E0E4107
	v_add_f32_e64 v4, v4, 1.0                                  // 00000000DCF0: D1010004 0001E504
	v_add_f32_e64 v5, v5, 1.0                                  // 00000000DCF8: D1010005 0001E505
	v_add_f32_e64 v6, v6, 1.0                                  // 00000000DD00: D1010006 0001E506
	v_add_f32_e64 v7, v7, 1.0                                  // 00000000DD08: D1010007 0001E507
	v_rcp_f32_e32 v4, v4                                       // 00000000DD10: 7E084504
	v_rcp_f32_e32 v5, v5                                       // 00000000DD14: 7E0A4505
	v_rcp_f32_e32 v6, v6                                       // 00000000DD18: 7E0C4506
	v_rcp_f32_e32 v7, v7                                       // 00000000DD1C: 7E0E4507
	v_mul_f32_e32 v168, v168, v4                               // 00000000DD20: 0B5009A8
	v_mul_f32_e32 v169, v169, v5                               // 00000000DD24: 0B520BA9
	v_mul_f32_e32 v170, v170, v6                               // 00000000DD28: 0B540DAA
	v_mul_f32_e32 v171, v171, v7                               // 00000000DD2C: 0B560FAB
	v_mul_f32_e32 v168, v168, v248                             // 00000000DD30: 0B51F1A8
	v_mul_f32_e32 v169, v169, v249                             // 00000000DD34: 0B53F3A9
	v_mul_f32_e32 v170, v170, v250                             // 00000000DD38: 0B55F5AA
	v_mul_f32_e32 v171, v171, v251                             // 00000000DD3C: 0B57F7AB
	s_branch label_2F54                                        // 00000000DD40: BF820280

000000000000dd44 <label_2CD4>:
	v_mul_f32_e64 v4, -v92, s6                                 // 00000000DD44: D1050004 20000D5C
	v_mul_f32_e64 v5, -v93, s6                                 // 00000000DD4C: D1050005 20000D5D
	v_mul_f32_e64 v6, -v94, s6                                 // 00000000DD54: D1050006 20000D5E
	v_mul_f32_e64 v7, -v95, s6                                 // 00000000DD5C: D1050007 20000D5F
	v_exp_f32_e32 v4, v4                                       // 00000000DD64: 7E084104
	v_exp_f32_e32 v5, v5                                       // 00000000DD68: 7E0A4105
	v_exp_f32_e32 v6, v6                                       // 00000000DD6C: 7E0C4106
	v_exp_f32_e32 v7, v7                                       // 00000000DD70: 7E0E4107
	v_add_f32_e64 v4, v4, 1.0                                  // 00000000DD74: D1010004 0001E504
	v_add_f32_e64 v5, v5, 1.0                                  // 00000000DD7C: D1010005 0001E505
	v_add_f32_e64 v6, v6, 1.0                                  // 00000000DD84: D1010006 0001E506
	v_add_f32_e64 v7, v7, 1.0                                  // 00000000DD8C: D1010007 0001E507
	v_rcp_f32_e32 v4, v4                                       // 00000000DD94: 7E084504
	v_rcp_f32_e32 v5, v5                                       // 00000000DD98: 7E0A4505
	v_rcp_f32_e32 v6, v6                                       // 00000000DD9C: 7E0C4506
	v_rcp_f32_e32 v7, v7                                       // 00000000DDA0: 7E0E4507
	v_mul_f32_e32 v92, v92, v4                                 // 00000000DDA4: 0AB8095C
	v_mul_f32_e32 v93, v93, v5                                 // 00000000DDA8: 0ABA0B5D
	v_mul_f32_e32 v94, v94, v6                                 // 00000000DDAC: 0ABC0D5E
	v_mul_f32_e32 v95, v95, v7                                 // 00000000DDB0: 0ABE0F5F
	v_mul_f32_e32 v92, v92, v172                               // 00000000DDB4: 0AB9595C
	v_mul_f32_e32 v93, v93, v173                               // 00000000DDB8: 0ABB5B5D
	v_mul_f32_e32 v94, v94, v174                               // 00000000DDBC: 0ABD5D5E
	v_mul_f32_e32 v95, v95, v175                               // 00000000DDC0: 0ABF5F5F
	v_mul_f32_e64 v4, -v96, s6                                 // 00000000DDC4: D1050004 20000D60
	v_mul_f32_e64 v5, -v97, s6                                 // 00000000DDCC: D1050005 20000D61
	v_mul_f32_e64 v6, -v98, s6                                 // 00000000DDD4: D1050006 20000D62
	v_mul_f32_e64 v7, -v99, s6                                 // 00000000DDDC: D1050007 20000D63
	v_exp_f32_e32 v4, v4                                       // 00000000DDE4: 7E084104
	v_exp_f32_e32 v5, v5                                       // 00000000DDE8: 7E0A4105
	v_exp_f32_e32 v6, v6                                       // 00000000DDEC: 7E0C4106
	v_exp_f32_e32 v7, v7                                       // 00000000DDF0: 7E0E4107
	v_add_f32_e64 v4, v4, 1.0                                  // 00000000DDF4: D1010004 0001E504
	v_add_f32_e64 v5, v5, 1.0                                  // 00000000DDFC: D1010005 0001E505
	v_add_f32_e64 v6, v6, 1.0                                  // 00000000DE04: D1010006 0001E506
	v_add_f32_e64 v7, v7, 1.0                                  // 00000000DE0C: D1010007 0001E507
	v_rcp_f32_e32 v4, v4                                       // 00000000DE14: 7E084504
	v_rcp_f32_e32 v5, v5                                       // 00000000DE18: 7E0A4505
	v_rcp_f32_e32 v6, v6                                       // 00000000DE1C: 7E0C4506
	v_rcp_f32_e32 v7, v7                                       // 00000000DE20: 7E0E4507
	v_mul_f32_e32 v96, v96, v4                                 // 00000000DE24: 0AC00960
	v_mul_f32_e32 v97, v97, v5                                 // 00000000DE28: 0AC20B61
	v_mul_f32_e32 v98, v98, v6                                 // 00000000DE2C: 0AC40D62
	v_mul_f32_e32 v99, v99, v7                                 // 00000000DE30: 0AC60F63
	v_mul_f32_e32 v96, v96, v176                               // 00000000DE34: 0AC16160
	v_mul_f32_e32 v97, v97, v177                               // 00000000DE38: 0AC36361
	v_mul_f32_e32 v98, v98, v178                               // 00000000DE3C: 0AC56562
	v_mul_f32_e32 v99, v99, v179                               // 00000000DE40: 0AC76763
	v_mul_f32_e64 v4, -v100, s6                                // 00000000DE44: D1050004 20000D64
	v_mul_f32_e64 v5, -v101, s6                                // 00000000DE4C: D1050005 20000D65
	v_mul_f32_e64 v6, -v102, s6                                // 00000000DE54: D1050006 20000D66
	v_mul_f32_e64 v7, -v103, s6                                // 00000000DE5C: D1050007 20000D67
	v_exp_f32_e32 v4, v4                                       // 00000000DE64: 7E084104
	v_exp_f32_e32 v5, v5                                       // 00000000DE68: 7E0A4105
	v_exp_f32_e32 v6, v6                                       // 00000000DE6C: 7E0C4106
	v_exp_f32_e32 v7, v7                                       // 00000000DE70: 7E0E4107
	v_add_f32_e64 v4, v4, 1.0                                  // 00000000DE74: D1010004 0001E504
	v_add_f32_e64 v5, v5, 1.0                                  // 00000000DE7C: D1010005 0001E505
	v_add_f32_e64 v6, v6, 1.0                                  // 00000000DE84: D1010006 0001E506
	v_add_f32_e64 v7, v7, 1.0                                  // 00000000DE8C: D1010007 0001E507
	v_rcp_f32_e32 v4, v4                                       // 00000000DE94: 7E084504
	v_rcp_f32_e32 v5, v5                                       // 00000000DE98: 7E0A4505
	v_rcp_f32_e32 v6, v6                                       // 00000000DE9C: 7E0C4506
	v_rcp_f32_e32 v7, v7                                       // 00000000DEA0: 7E0E4507
	v_mul_f32_e32 v100, v100, v4                               // 00000000DEA4: 0AC80964
	v_mul_f32_e32 v101, v101, v5                               // 00000000DEA8: 0ACA0B65
	v_mul_f32_e32 v102, v102, v6                               // 00000000DEAC: 0ACC0D66
	v_mul_f32_e32 v103, v103, v7                               // 00000000DEB0: 0ACE0F67
	v_mul_f32_e32 v100, v100, v180                             // 00000000DEB4: 0AC96964
	v_mul_f32_e32 v101, v101, v181                             // 00000000DEB8: 0ACB6B65
	v_mul_f32_e32 v102, v102, v182                             // 00000000DEBC: 0ACD6D66
	v_mul_f32_e32 v103, v103, v183                             // 00000000DEC0: 0ACF6F67
	v_mul_f32_e64 v4, -v104, s6                                // 00000000DEC4: D1050004 20000D68
	v_mul_f32_e64 v5, -v105, s6                                // 00000000DECC: D1050005 20000D69
	v_mul_f32_e64 v6, -v106, s6                                // 00000000DED4: D1050006 20000D6A
	v_mul_f32_e64 v7, -v107, s6                                // 00000000DEDC: D1050007 20000D6B
	v_exp_f32_e32 v4, v4                                       // 00000000DEE4: 7E084104
	v_exp_f32_e32 v5, v5                                       // 00000000DEE8: 7E0A4105
	v_exp_f32_e32 v6, v6                                       // 00000000DEEC: 7E0C4106
	v_exp_f32_e32 v7, v7                                       // 00000000DEF0: 7E0E4107
	v_add_f32_e64 v4, v4, 1.0                                  // 00000000DEF4: D1010004 0001E504
	v_add_f32_e64 v5, v5, 1.0                                  // 00000000DEFC: D1010005 0001E505
	v_add_f32_e64 v6, v6, 1.0                                  // 00000000DF04: D1010006 0001E506
	v_add_f32_e64 v7, v7, 1.0                                  // 00000000DF0C: D1010007 0001E507
	v_rcp_f32_e32 v4, v4                                       // 00000000DF14: 7E084504
	v_rcp_f32_e32 v5, v5                                       // 00000000DF18: 7E0A4505
	v_rcp_f32_e32 v6, v6                                       // 00000000DF1C: 7E0C4506
	v_rcp_f32_e32 v7, v7                                       // 00000000DF20: 7E0E4507
	v_mul_f32_e32 v104, v104, v4                               // 00000000DF24: 0AD00968
	v_mul_f32_e32 v105, v105, v5                               // 00000000DF28: 0AD20B69
	v_mul_f32_e32 v106, v106, v6                               // 00000000DF2C: 0AD40D6A
	v_mul_f32_e32 v107, v107, v7                               // 00000000DF30: 0AD60F6B
	v_mul_f32_e32 v104, v104, v184                             // 00000000DF34: 0AD17168
	v_mul_f32_e32 v105, v105, v185                             // 00000000DF38: 0AD37369
	v_mul_f32_e32 v106, v106, v186                             // 00000000DF3C: 0AD5756A
	v_mul_f32_e32 v107, v107, v187                             // 00000000DF40: 0AD7776B
	v_mul_f32_e64 v4, -v108, s6                                // 00000000DF44: D1050004 20000D6C
	v_mul_f32_e64 v5, -v109, s6                                // 00000000DF4C: D1050005 20000D6D
	v_mul_f32_e64 v6, -v110, s6                                // 00000000DF54: D1050006 20000D6E
	v_mul_f32_e64 v7, -v111, s6                                // 00000000DF5C: D1050007 20000D6F
	v_exp_f32_e32 v4, v4                                       // 00000000DF64: 7E084104
	v_exp_f32_e32 v5, v5                                       // 00000000DF68: 7E0A4105
	v_exp_f32_e32 v6, v6                                       // 00000000DF6C: 7E0C4106
	v_exp_f32_e32 v7, v7                                       // 00000000DF70: 7E0E4107
	v_add_f32_e64 v4, v4, 1.0                                  // 00000000DF74: D1010004 0001E504
	v_add_f32_e64 v5, v5, 1.0                                  // 00000000DF7C: D1010005 0001E505
	v_add_f32_e64 v6, v6, 1.0                                  // 00000000DF84: D1010006 0001E506
	v_add_f32_e64 v7, v7, 1.0                                  // 00000000DF8C: D1010007 0001E507
	v_rcp_f32_e32 v4, v4                                       // 00000000DF94: 7E084504
	v_rcp_f32_e32 v5, v5                                       // 00000000DF98: 7E0A4505
	v_rcp_f32_e32 v6, v6                                       // 00000000DF9C: 7E0C4506
	v_rcp_f32_e32 v7, v7                                       // 00000000DFA0: 7E0E4507
	v_mul_f32_e32 v108, v108, v4                               // 00000000DFA4: 0AD8096C
	v_mul_f32_e32 v109, v109, v5                               // 00000000DFA8: 0ADA0B6D
	v_mul_f32_e32 v110, v110, v6                               // 00000000DFAC: 0ADC0D6E
	v_mul_f32_e32 v111, v111, v7                               // 00000000DFB0: 0ADE0F6F
	v_mul_f32_e32 v108, v108, v188                             // 00000000DFB4: 0AD9796C
	v_mul_f32_e32 v109, v109, v189                             // 00000000DFB8: 0ADB7B6D
	v_mul_f32_e32 v110, v110, v190                             // 00000000DFBC: 0ADD7D6E
	v_mul_f32_e32 v111, v111, v191                             // 00000000DFC0: 0ADF7F6F
	v_mul_f32_e64 v4, -v112, s6                                // 00000000DFC4: D1050004 20000D70
	v_mul_f32_e64 v5, -v113, s6                                // 00000000DFCC: D1050005 20000D71
	v_mul_f32_e64 v6, -v114, s6                                // 00000000DFD4: D1050006 20000D72
	v_mul_f32_e64 v7, -v115, s6                                // 00000000DFDC: D1050007 20000D73
	v_exp_f32_e32 v4, v4                                       // 00000000DFE4: 7E084104
	v_exp_f32_e32 v5, v5                                       // 00000000DFE8: 7E0A4105
	v_exp_f32_e32 v6, v6                                       // 00000000DFEC: 7E0C4106
	v_exp_f32_e32 v7, v7                                       // 00000000DFF0: 7E0E4107
	v_add_f32_e64 v4, v4, 1.0                                  // 00000000DFF4: D1010004 0001E504
	v_add_f32_e64 v5, v5, 1.0                                  // 00000000DFFC: D1010005 0001E505
	v_add_f32_e64 v6, v6, 1.0                                  // 00000000E004: D1010006 0001E506
	v_add_f32_e64 v7, v7, 1.0                                  // 00000000E00C: D1010007 0001E507
	v_rcp_f32_e32 v4, v4                                       // 00000000E014: 7E084504
	v_rcp_f32_e32 v5, v5                                       // 00000000E018: 7E0A4505
	v_rcp_f32_e32 v6, v6                                       // 00000000E01C: 7E0C4506
	v_rcp_f32_e32 v7, v7                                       // 00000000E020: 7E0E4507
	v_mul_f32_e32 v112, v112, v4                               // 00000000E024: 0AE00970
	v_mul_f32_e32 v113, v113, v5                               // 00000000E028: 0AE20B71
	v_mul_f32_e32 v114, v114, v6                               // 00000000E02C: 0AE40D72
	v_mul_f32_e32 v115, v115, v7                               // 00000000E030: 0AE60F73
	v_mul_f32_e32 v112, v112, v192                             // 00000000E034: 0AE18170
	v_mul_f32_e32 v113, v113, v193                             // 00000000E038: 0AE38371
	v_mul_f32_e32 v114, v114, v194                             // 00000000E03C: 0AE58572
	v_mul_f32_e32 v115, v115, v195                             // 00000000E040: 0AE78773
	v_mul_f32_e64 v4, -v116, s6                                // 00000000E044: D1050004 20000D74
	v_mul_f32_e64 v5, -v117, s6                                // 00000000E04C: D1050005 20000D75
	v_mul_f32_e64 v6, -v118, s6                                // 00000000E054: D1050006 20000D76
	v_mul_f32_e64 v7, -v119, s6                                // 00000000E05C: D1050007 20000D77
	v_exp_f32_e32 v4, v4                                       // 00000000E064: 7E084104
	v_exp_f32_e32 v5, v5                                       // 00000000E068: 7E0A4105
	v_exp_f32_e32 v6, v6                                       // 00000000E06C: 7E0C4106
	v_exp_f32_e32 v7, v7                                       // 00000000E070: 7E0E4107
	v_add_f32_e64 v4, v4, 1.0                                  // 00000000E074: D1010004 0001E504
	v_add_f32_e64 v5, v5, 1.0                                  // 00000000E07C: D1010005 0001E505
	v_add_f32_e64 v6, v6, 1.0                                  // 00000000E084: D1010006 0001E506
	v_add_f32_e64 v7, v7, 1.0                                  // 00000000E08C: D1010007 0001E507
	v_rcp_f32_e32 v4, v4                                       // 00000000E094: 7E084504
	v_rcp_f32_e32 v5, v5                                       // 00000000E098: 7E0A4505
	v_rcp_f32_e32 v6, v6                                       // 00000000E09C: 7E0C4506
	v_rcp_f32_e32 v7, v7                                       // 00000000E0A0: 7E0E4507
	v_mul_f32_e32 v116, v116, v4                               // 00000000E0A4: 0AE80974
	v_mul_f32_e32 v117, v117, v5                               // 00000000E0A8: 0AEA0B75
	v_mul_f32_e32 v118, v118, v6                               // 00000000E0AC: 0AEC0D76
	v_mul_f32_e32 v119, v119, v7                               // 00000000E0B0: 0AEE0F77
	v_mul_f32_e32 v116, v116, v196                             // 00000000E0B4: 0AE98974
	v_mul_f32_e32 v117, v117, v197                             // 00000000E0B8: 0AEB8B75
	v_mul_f32_e32 v118, v118, v198                             // 00000000E0BC: 0AED8D76
	v_mul_f32_e32 v119, v119, v199                             // 00000000E0C0: 0AEF8F77
	v_mul_f32_e64 v4, -v120, s6                                // 00000000E0C4: D1050004 20000D78
	v_mul_f32_e64 v5, -v121, s6                                // 00000000E0CC: D1050005 20000D79
	v_mul_f32_e64 v6, -v122, s6                                // 00000000E0D4: D1050006 20000D7A
	v_mul_f32_e64 v7, -v123, s6                                // 00000000E0DC: D1050007 20000D7B
	v_exp_f32_e32 v4, v4                                       // 00000000E0E4: 7E084104
	v_exp_f32_e32 v5, v5                                       // 00000000E0E8: 7E0A4105
	v_exp_f32_e32 v6, v6                                       // 00000000E0EC: 7E0C4106
	v_exp_f32_e32 v7, v7                                       // 00000000E0F0: 7E0E4107
	v_add_f32_e64 v4, v4, 1.0                                  // 00000000E0F4: D1010004 0001E504
	v_add_f32_e64 v5, v5, 1.0                                  // 00000000E0FC: D1010005 0001E505
	v_add_f32_e64 v6, v6, 1.0                                  // 00000000E104: D1010006 0001E506
	v_add_f32_e64 v7, v7, 1.0                                  // 00000000E10C: D1010007 0001E507
	v_rcp_f32_e32 v4, v4                                       // 00000000E114: 7E084504
	v_rcp_f32_e32 v5, v5                                       // 00000000E118: 7E0A4505
	v_rcp_f32_e32 v6, v6                                       // 00000000E11C: 7E0C4506
	v_rcp_f32_e32 v7, v7                                       // 00000000E120: 7E0E4507
	v_mul_f32_e32 v120, v120, v4                               // 00000000E124: 0AF00978
	v_mul_f32_e32 v121, v121, v5                               // 00000000E128: 0AF20B79
	v_mul_f32_e32 v122, v122, v6                               // 00000000E12C: 0AF40D7A
	v_mul_f32_e32 v123, v123, v7                               // 00000000E130: 0AF60F7B
	v_mul_f32_e32 v120, v120, v200                             // 00000000E134: 0AF19178
	v_mul_f32_e32 v121, v121, v201                             // 00000000E138: 0AF39379
	v_mul_f32_e32 v122, v122, v202                             // 00000000E13C: 0AF5957A
	v_mul_f32_e32 v123, v123, v203                             // 00000000E140: 0AF7977B
	v_mul_f32_e64 v4, -v124, s6                                // 00000000E144: D1050004 20000D7C
	v_mul_f32_e64 v5, -v125, s6                                // 00000000E14C: D1050005 20000D7D
	v_mul_f32_e64 v6, -v126, s6                                // 00000000E154: D1050006 20000D7E
	v_mul_f32_e64 v7, -v127, s6                                // 00000000E15C: D1050007 20000D7F
	v_exp_f32_e32 v4, v4                                       // 00000000E164: 7E084104
	v_exp_f32_e32 v5, v5                                       // 00000000E168: 7E0A4105
	v_exp_f32_e32 v6, v6                                       // 00000000E16C: 7E0C4106
	v_exp_f32_e32 v7, v7                                       // 00000000E170: 7E0E4107
	v_add_f32_e64 v4, v4, 1.0                                  // 00000000E174: D1010004 0001E504
	v_add_f32_e64 v5, v5, 1.0                                  // 00000000E17C: D1010005 0001E505
	v_add_f32_e64 v6, v6, 1.0                                  // 00000000E184: D1010006 0001E506
	v_add_f32_e64 v7, v7, 1.0                                  // 00000000E18C: D1010007 0001E507
	v_rcp_f32_e32 v4, v4                                       // 00000000E194: 7E084504
	v_rcp_f32_e32 v5, v5                                       // 00000000E198: 7E0A4505
	v_rcp_f32_e32 v6, v6                                       // 00000000E19C: 7E0C4506
	v_rcp_f32_e32 v7, v7                                       // 00000000E1A0: 7E0E4507
	v_mul_f32_e32 v124, v124, v4                               // 00000000E1A4: 0AF8097C
	v_mul_f32_e32 v125, v125, v5                               // 00000000E1A8: 0AFA0B7D
	v_mul_f32_e32 v126, v126, v6                               // 00000000E1AC: 0AFC0D7E
	v_mul_f32_e32 v127, v127, v7                               // 00000000E1B0: 0AFE0F7F
	v_mul_f32_e32 v124, v124, v204                             // 00000000E1B4: 0AF9997C
	v_mul_f32_e32 v125, v125, v205                             // 00000000E1B8: 0AFB9B7D
	v_mul_f32_e32 v126, v126, v206                             // 00000000E1BC: 0AFD9D7E
	v_mul_f32_e32 v127, v127, v207                             // 00000000E1C0: 0AFF9F7F
	v_mul_f32_e64 v4, -v128, s6                                // 00000000E1C4: D1050004 20000D80
	v_mul_f32_e64 v5, -v129, s6                                // 00000000E1CC: D1050005 20000D81
	v_mul_f32_e64 v6, -v130, s6                                // 00000000E1D4: D1050006 20000D82
	v_mul_f32_e64 v7, -v131, s6                                // 00000000E1DC: D1050007 20000D83
	v_exp_f32_e32 v4, v4                                       // 00000000E1E4: 7E084104
	v_exp_f32_e32 v5, v5                                       // 00000000E1E8: 7E0A4105
	v_exp_f32_e32 v6, v6                                       // 00000000E1EC: 7E0C4106
	v_exp_f32_e32 v7, v7                                       // 00000000E1F0: 7E0E4107
	v_add_f32_e64 v4, v4, 1.0                                  // 00000000E1F4: D1010004 0001E504
	v_add_f32_e64 v5, v5, 1.0                                  // 00000000E1FC: D1010005 0001E505
	v_add_f32_e64 v6, v6, 1.0                                  // 00000000E204: D1010006 0001E506
	v_add_f32_e64 v7, v7, 1.0                                  // 00000000E20C: D1010007 0001E507
	v_rcp_f32_e32 v4, v4                                       // 00000000E214: 7E084504
	v_rcp_f32_e32 v5, v5                                       // 00000000E218: 7E0A4505
	v_rcp_f32_e32 v6, v6                                       // 00000000E21C: 7E0C4506
	v_rcp_f32_e32 v7, v7                                       // 00000000E220: 7E0E4507
	v_mul_f32_e32 v128, v128, v4                               // 00000000E224: 0B000980
	v_mul_f32_e32 v129, v129, v5                               // 00000000E228: 0B020B81
	v_mul_f32_e32 v130, v130, v6                               // 00000000E22C: 0B040D82
	v_mul_f32_e32 v131, v131, v7                               // 00000000E230: 0B060F83
	v_mul_f32_e32 v128, v128, v208                             // 00000000E234: 0B01A180
	v_mul_f32_e32 v129, v129, v209                             // 00000000E238: 0B03A381
	v_mul_f32_e32 v130, v130, v210                             // 00000000E23C: 0B05A582
	v_mul_f32_e32 v131, v131, v211                             // 00000000E240: 0B07A783
	v_mul_f32_e64 v4, -v132, s6                                // 00000000E244: D1050004 20000D84
	v_mul_f32_e64 v5, -v133, s6                                // 00000000E24C: D1050005 20000D85
	v_mul_f32_e64 v6, -v134, s6                                // 00000000E254: D1050006 20000D86
	v_mul_f32_e64 v7, -v135, s6                                // 00000000E25C: D1050007 20000D87
	v_exp_f32_e32 v4, v4                                       // 00000000E264: 7E084104
	v_exp_f32_e32 v5, v5                                       // 00000000E268: 7E0A4105
	v_exp_f32_e32 v6, v6                                       // 00000000E26C: 7E0C4106
	v_exp_f32_e32 v7, v7                                       // 00000000E270: 7E0E4107
	v_add_f32_e64 v4, v4, 1.0                                  // 00000000E274: D1010004 0001E504
	v_add_f32_e64 v5, v5, 1.0                                  // 00000000E27C: D1010005 0001E505
	v_add_f32_e64 v6, v6, 1.0                                  // 00000000E284: D1010006 0001E506
	v_add_f32_e64 v7, v7, 1.0                                  // 00000000E28C: D1010007 0001E507
	v_rcp_f32_e32 v4, v4                                       // 00000000E294: 7E084504
	v_rcp_f32_e32 v5, v5                                       // 00000000E298: 7E0A4505
	v_rcp_f32_e32 v6, v6                                       // 00000000E29C: 7E0C4506
	v_rcp_f32_e32 v7, v7                                       // 00000000E2A0: 7E0E4507
	v_mul_f32_e32 v132, v132, v4                               // 00000000E2A4: 0B080984
	v_mul_f32_e32 v133, v133, v5                               // 00000000E2A8: 0B0A0B85
	v_mul_f32_e32 v134, v134, v6                               // 00000000E2AC: 0B0C0D86
	v_mul_f32_e32 v135, v135, v7                               // 00000000E2B0: 0B0E0F87
	v_mul_f32_e32 v132, v132, v212                             // 00000000E2B4: 0B09A984
	v_mul_f32_e32 v133, v133, v213                             // 00000000E2B8: 0B0BAB85
	v_mul_f32_e32 v134, v134, v214                             // 00000000E2BC: 0B0DAD86
	v_mul_f32_e32 v135, v135, v215                             // 00000000E2C0: 0B0FAF87
	v_mul_f32_e64 v4, -v136, s6                                // 00000000E2C4: D1050004 20000D88
	v_mul_f32_e64 v5, -v137, s6                                // 00000000E2CC: D1050005 20000D89
	v_mul_f32_e64 v6, -v138, s6                                // 00000000E2D4: D1050006 20000D8A
	v_mul_f32_e64 v7, -v139, s6                                // 00000000E2DC: D1050007 20000D8B
	v_exp_f32_e32 v4, v4                                       // 00000000E2E4: 7E084104
	v_exp_f32_e32 v5, v5                                       // 00000000E2E8: 7E0A4105
	v_exp_f32_e32 v6, v6                                       // 00000000E2EC: 7E0C4106
	v_exp_f32_e32 v7, v7                                       // 00000000E2F0: 7E0E4107
	v_add_f32_e64 v4, v4, 1.0                                  // 00000000E2F4: D1010004 0001E504
	v_add_f32_e64 v5, v5, 1.0                                  // 00000000E2FC: D1010005 0001E505
	v_add_f32_e64 v6, v6, 1.0                                  // 00000000E304: D1010006 0001E506
	v_add_f32_e64 v7, v7, 1.0                                  // 00000000E30C: D1010007 0001E507
	v_rcp_f32_e32 v4, v4                                       // 00000000E314: 7E084504
	v_rcp_f32_e32 v5, v5                                       // 00000000E318: 7E0A4505
	v_rcp_f32_e32 v6, v6                                       // 00000000E31C: 7E0C4506
	v_rcp_f32_e32 v7, v7                                       // 00000000E320: 7E0E4507
	v_mul_f32_e32 v136, v136, v4                               // 00000000E324: 0B100988
	v_mul_f32_e32 v137, v137, v5                               // 00000000E328: 0B120B89
	v_mul_f32_e32 v138, v138, v6                               // 00000000E32C: 0B140D8A
	v_mul_f32_e32 v139, v139, v7                               // 00000000E330: 0B160F8B
	v_mul_f32_e32 v136, v136, v216                             // 00000000E334: 0B11B188
	v_mul_f32_e32 v137, v137, v217                             // 00000000E338: 0B13B389
	v_mul_f32_e32 v138, v138, v218                             // 00000000E33C: 0B15B58A
	v_mul_f32_e32 v139, v139, v219                             // 00000000E340: 0B17B78B
	v_mul_f32_e64 v4, -v140, s6                                // 00000000E344: D1050004 20000D8C
	v_mul_f32_e64 v5, -v141, s6                                // 00000000E34C: D1050005 20000D8D
	v_mul_f32_e64 v6, -v142, s6                                // 00000000E354: D1050006 20000D8E
	v_mul_f32_e64 v7, -v143, s6                                // 00000000E35C: D1050007 20000D8F
	v_exp_f32_e32 v4, v4                                       // 00000000E364: 7E084104
	v_exp_f32_e32 v5, v5                                       // 00000000E368: 7E0A4105
	v_exp_f32_e32 v6, v6                                       // 00000000E36C: 7E0C4106
	v_exp_f32_e32 v7, v7                                       // 00000000E370: 7E0E4107
	v_add_f32_e64 v4, v4, 1.0                                  // 00000000E374: D1010004 0001E504
	v_add_f32_e64 v5, v5, 1.0                                  // 00000000E37C: D1010005 0001E505
	v_add_f32_e64 v6, v6, 1.0                                  // 00000000E384: D1010006 0001E506
	v_add_f32_e64 v7, v7, 1.0                                  // 00000000E38C: D1010007 0001E507
	v_rcp_f32_e32 v4, v4                                       // 00000000E394: 7E084504
	v_rcp_f32_e32 v5, v5                                       // 00000000E398: 7E0A4505
	v_rcp_f32_e32 v6, v6                                       // 00000000E39C: 7E0C4506
	v_rcp_f32_e32 v7, v7                                       // 00000000E3A0: 7E0E4507
	v_mul_f32_e32 v140, v140, v4                               // 00000000E3A4: 0B18098C
	v_mul_f32_e32 v141, v141, v5                               // 00000000E3A8: 0B1A0B8D
	v_mul_f32_e32 v142, v142, v6                               // 00000000E3AC: 0B1C0D8E
	v_mul_f32_e32 v143, v143, v7                               // 00000000E3B0: 0B1E0F8F
	v_mul_f32_e32 v140, v140, v220                             // 00000000E3B4: 0B19B98C
	v_mul_f32_e32 v141, v141, v221                             // 00000000E3B8: 0B1BBB8D
	v_mul_f32_e32 v142, v142, v222                             // 00000000E3BC: 0B1DBD8E
	v_mul_f32_e32 v143, v143, v223                             // 00000000E3C0: 0B1FBF8F
	v_mul_f32_e64 v4, -v144, s6                                // 00000000E3C4: D1050004 20000D90
	v_mul_f32_e64 v5, -v145, s6                                // 00000000E3CC: D1050005 20000D91
	v_mul_f32_e64 v6, -v146, s6                                // 00000000E3D4: D1050006 20000D92
	v_mul_f32_e64 v7, -v147, s6                                // 00000000E3DC: D1050007 20000D93
	v_exp_f32_e32 v4, v4                                       // 00000000E3E4: 7E084104
	v_exp_f32_e32 v5, v5                                       // 00000000E3E8: 7E0A4105
	v_exp_f32_e32 v6, v6                                       // 00000000E3EC: 7E0C4106
	v_exp_f32_e32 v7, v7                                       // 00000000E3F0: 7E0E4107
	v_add_f32_e64 v4, v4, 1.0                                  // 00000000E3F4: D1010004 0001E504
	v_add_f32_e64 v5, v5, 1.0                                  // 00000000E3FC: D1010005 0001E505
	v_add_f32_e64 v6, v6, 1.0                                  // 00000000E404: D1010006 0001E506
	v_add_f32_e64 v7, v7, 1.0                                  // 00000000E40C: D1010007 0001E507
	v_rcp_f32_e32 v4, v4                                       // 00000000E414: 7E084504
	v_rcp_f32_e32 v5, v5                                       // 00000000E418: 7E0A4505
	v_rcp_f32_e32 v6, v6                                       // 00000000E41C: 7E0C4506
	v_rcp_f32_e32 v7, v7                                       // 00000000E420: 7E0E4507
	v_mul_f32_e32 v144, v144, v4                               // 00000000E424: 0B200990
	v_mul_f32_e32 v145, v145, v5                               // 00000000E428: 0B220B91
	v_mul_f32_e32 v146, v146, v6                               // 00000000E42C: 0B240D92
	v_mul_f32_e32 v147, v147, v7                               // 00000000E430: 0B260F93
	v_mul_f32_e32 v144, v144, v224                             // 00000000E434: 0B21C190
	v_mul_f32_e32 v145, v145, v225                             // 00000000E438: 0B23C391
	v_mul_f32_e32 v146, v146, v226                             // 00000000E43C: 0B25C592
	v_mul_f32_e32 v147, v147, v227                             // 00000000E440: 0B27C793
	v_mul_f32_e64 v4, -v148, s6                                // 00000000E444: D1050004 20000D94
	v_mul_f32_e64 v5, -v149, s6                                // 00000000E44C: D1050005 20000D95
	v_mul_f32_e64 v6, -v150, s6                                // 00000000E454: D1050006 20000D96
	v_mul_f32_e64 v7, -v151, s6                                // 00000000E45C: D1050007 20000D97
	v_exp_f32_e32 v4, v4                                       // 00000000E464: 7E084104
	v_exp_f32_e32 v5, v5                                       // 00000000E468: 7E0A4105
	v_exp_f32_e32 v6, v6                                       // 00000000E46C: 7E0C4106
	v_exp_f32_e32 v7, v7                                       // 00000000E470: 7E0E4107
	v_add_f32_e64 v4, v4, 1.0                                  // 00000000E474: D1010004 0001E504
	v_add_f32_e64 v5, v5, 1.0                                  // 00000000E47C: D1010005 0001E505
	v_add_f32_e64 v6, v6, 1.0                                  // 00000000E484: D1010006 0001E506
	v_add_f32_e64 v7, v7, 1.0                                  // 00000000E48C: D1010007 0001E507
	v_rcp_f32_e32 v4, v4                                       // 00000000E494: 7E084504
	v_rcp_f32_e32 v5, v5                                       // 00000000E498: 7E0A4505
	v_rcp_f32_e32 v6, v6                                       // 00000000E49C: 7E0C4506
	v_rcp_f32_e32 v7, v7                                       // 00000000E4A0: 7E0E4507
	v_mul_f32_e32 v148, v148, v4                               // 00000000E4A4: 0B280994
	v_mul_f32_e32 v149, v149, v5                               // 00000000E4A8: 0B2A0B95
	v_mul_f32_e32 v150, v150, v6                               // 00000000E4AC: 0B2C0D96
	v_mul_f32_e32 v151, v151, v7                               // 00000000E4B0: 0B2E0F97
	v_mul_f32_e32 v148, v148, v228                             // 00000000E4B4: 0B29C994
	v_mul_f32_e32 v149, v149, v229                             // 00000000E4B8: 0B2BCB95
	v_mul_f32_e32 v150, v150, v230                             // 00000000E4BC: 0B2DCD96
	v_mul_f32_e32 v151, v151, v231                             // 00000000E4C0: 0B2FCF97
	v_mul_f32_e64 v4, -v152, s6                                // 00000000E4C4: D1050004 20000D98
	v_mul_f32_e64 v5, -v153, s6                                // 00000000E4CC: D1050005 20000D99
	v_mul_f32_e64 v6, -v154, s6                                // 00000000E4D4: D1050006 20000D9A
	v_mul_f32_e64 v7, -v155, s6                                // 00000000E4DC: D1050007 20000D9B
	v_exp_f32_e32 v4, v4                                       // 00000000E4E4: 7E084104
	v_exp_f32_e32 v5, v5                                       // 00000000E4E8: 7E0A4105
	v_exp_f32_e32 v6, v6                                       // 00000000E4EC: 7E0C4106
	v_exp_f32_e32 v7, v7                                       // 00000000E4F0: 7E0E4107
	v_add_f32_e64 v4, v4, 1.0                                  // 00000000E4F4: D1010004 0001E504
	v_add_f32_e64 v5, v5, 1.0                                  // 00000000E4FC: D1010005 0001E505
	v_add_f32_e64 v6, v6, 1.0                                  // 00000000E504: D1010006 0001E506
	v_add_f32_e64 v7, v7, 1.0                                  // 00000000E50C: D1010007 0001E507
	v_rcp_f32_e32 v4, v4                                       // 00000000E514: 7E084504
	v_rcp_f32_e32 v5, v5                                       // 00000000E518: 7E0A4505
	v_rcp_f32_e32 v6, v6                                       // 00000000E51C: 7E0C4506
	v_rcp_f32_e32 v7, v7                                       // 00000000E520: 7E0E4507
	v_mul_f32_e32 v152, v152, v4                               // 00000000E524: 0B300998
	v_mul_f32_e32 v153, v153, v5                               // 00000000E528: 0B320B99
	v_mul_f32_e32 v154, v154, v6                               // 00000000E52C: 0B340D9A
	v_mul_f32_e32 v155, v155, v7                               // 00000000E530: 0B360F9B
	v_mul_f32_e32 v152, v152, v232                             // 00000000E534: 0B31D198
	v_mul_f32_e32 v153, v153, v233                             // 00000000E538: 0B33D399
	v_mul_f32_e32 v154, v154, v234                             // 00000000E53C: 0B35D59A
	v_mul_f32_e32 v155, v155, v235                             // 00000000E540: 0B37D79B
	v_mul_f32_e64 v4, -v156, s6                                // 00000000E544: D1050004 20000D9C
	v_mul_f32_e64 v5, -v157, s6                                // 00000000E54C: D1050005 20000D9D
	v_mul_f32_e64 v6, -v158, s6                                // 00000000E554: D1050006 20000D9E
	v_mul_f32_e64 v7, -v159, s6                                // 00000000E55C: D1050007 20000D9F
	v_exp_f32_e32 v4, v4                                       // 00000000E564: 7E084104
	v_exp_f32_e32 v5, v5                                       // 00000000E568: 7E0A4105
	v_exp_f32_e32 v6, v6                                       // 00000000E56C: 7E0C4106
	v_exp_f32_e32 v7, v7                                       // 00000000E570: 7E0E4107
	v_add_f32_e64 v4, v4, 1.0                                  // 00000000E574: D1010004 0001E504
	v_add_f32_e64 v5, v5, 1.0                                  // 00000000E57C: D1010005 0001E505
	v_add_f32_e64 v6, v6, 1.0                                  // 00000000E584: D1010006 0001E506
	v_add_f32_e64 v7, v7, 1.0                                  // 00000000E58C: D1010007 0001E507
	v_rcp_f32_e32 v4, v4                                       // 00000000E594: 7E084504
	v_rcp_f32_e32 v5, v5                                       // 00000000E598: 7E0A4505
	v_rcp_f32_e32 v6, v6                                       // 00000000E59C: 7E0C4506
	v_rcp_f32_e32 v7, v7                                       // 00000000E5A0: 7E0E4507
	v_mul_f32_e32 v156, v156, v4                               // 00000000E5A4: 0B38099C
	v_mul_f32_e32 v157, v157, v5                               // 00000000E5A8: 0B3A0B9D
	v_mul_f32_e32 v158, v158, v6                               // 00000000E5AC: 0B3C0D9E
	v_mul_f32_e32 v159, v159, v7                               // 00000000E5B0: 0B3E0F9F
	v_mul_f32_e32 v156, v156, v236                             // 00000000E5B4: 0B39D99C
	v_mul_f32_e32 v157, v157, v237                             // 00000000E5B8: 0B3BDB9D
	v_mul_f32_e32 v158, v158, v238                             // 00000000E5BC: 0B3DDD9E
	v_mul_f32_e32 v159, v159, v239                             // 00000000E5C0: 0B3FDF9F
	v_mul_f32_e64 v4, -v160, s6                                // 00000000E5C4: D1050004 20000DA0
	v_mul_f32_e64 v5, -v161, s6                                // 00000000E5CC: D1050005 20000DA1
	v_mul_f32_e64 v6, -v162, s6                                // 00000000E5D4: D1050006 20000DA2
	v_mul_f32_e64 v7, -v163, s6                                // 00000000E5DC: D1050007 20000DA3
	v_exp_f32_e32 v4, v4                                       // 00000000E5E4: 7E084104
	v_exp_f32_e32 v5, v5                                       // 00000000E5E8: 7E0A4105
	v_exp_f32_e32 v6, v6                                       // 00000000E5EC: 7E0C4106
	v_exp_f32_e32 v7, v7                                       // 00000000E5F0: 7E0E4107
	v_add_f32_e64 v4, v4, 1.0                                  // 00000000E5F4: D1010004 0001E504
	v_add_f32_e64 v5, v5, 1.0                                  // 00000000E5FC: D1010005 0001E505
	v_add_f32_e64 v6, v6, 1.0                                  // 00000000E604: D1010006 0001E506
	v_add_f32_e64 v7, v7, 1.0                                  // 00000000E60C: D1010007 0001E507
	v_rcp_f32_e32 v4, v4                                       // 00000000E614: 7E084504
	v_rcp_f32_e32 v5, v5                                       // 00000000E618: 7E0A4505
	v_rcp_f32_e32 v6, v6                                       // 00000000E61C: 7E0C4506
	v_rcp_f32_e32 v7, v7                                       // 00000000E620: 7E0E4507
	v_mul_f32_e32 v160, v160, v4                               // 00000000E624: 0B4009A0
	v_mul_f32_e32 v161, v161, v5                               // 00000000E628: 0B420BA1
	v_mul_f32_e32 v162, v162, v6                               // 00000000E62C: 0B440DA2
	v_mul_f32_e32 v163, v163, v7                               // 00000000E630: 0B460FA3
	v_mul_f32_e32 v160, v160, v240                             // 00000000E634: 0B41E1A0
	v_mul_f32_e32 v161, v161, v241                             // 00000000E638: 0B43E3A1
	v_mul_f32_e32 v162, v162, v242                             // 00000000E63C: 0B45E5A2
	v_mul_f32_e32 v163, v163, v243                             // 00000000E640: 0B47E7A3
	v_mul_f32_e64 v4, -v164, s6                                // 00000000E644: D1050004 20000DA4
	v_mul_f32_e64 v5, -v165, s6                                // 00000000E64C: D1050005 20000DA5
	v_mul_f32_e64 v6, -v166, s6                                // 00000000E654: D1050006 20000DA6
	v_mul_f32_e64 v7, -v167, s6                                // 00000000E65C: D1050007 20000DA7
	v_exp_f32_e32 v4, v4                                       // 00000000E664: 7E084104
	v_exp_f32_e32 v5, v5                                       // 00000000E668: 7E0A4105
	v_exp_f32_e32 v6, v6                                       // 00000000E66C: 7E0C4106
	v_exp_f32_e32 v7, v7                                       // 00000000E670: 7E0E4107
	v_add_f32_e64 v4, v4, 1.0                                  // 00000000E674: D1010004 0001E504
	v_add_f32_e64 v5, v5, 1.0                                  // 00000000E67C: D1010005 0001E505
	v_add_f32_e64 v6, v6, 1.0                                  // 00000000E684: D1010006 0001E506
	v_add_f32_e64 v7, v7, 1.0                                  // 00000000E68C: D1010007 0001E507
	v_rcp_f32_e32 v4, v4                                       // 00000000E694: 7E084504
	v_rcp_f32_e32 v5, v5                                       // 00000000E698: 7E0A4505
	v_rcp_f32_e32 v6, v6                                       // 00000000E69C: 7E0C4506
	v_rcp_f32_e32 v7, v7                                       // 00000000E6A0: 7E0E4507
	v_mul_f32_e32 v164, v164, v4                               // 00000000E6A4: 0B4809A4
	v_mul_f32_e32 v165, v165, v5                               // 00000000E6A8: 0B4A0BA5
	v_mul_f32_e32 v166, v166, v6                               // 00000000E6AC: 0B4C0DA6
	v_mul_f32_e32 v167, v167, v7                               // 00000000E6B0: 0B4E0FA7
	v_mul_f32_e32 v164, v164, v244                             // 00000000E6B4: 0B49E9A4
	v_mul_f32_e32 v165, v165, v245                             // 00000000E6B8: 0B4BEBA5
	v_mul_f32_e32 v166, v166, v246                             // 00000000E6BC: 0B4DEDA6
	v_mul_f32_e32 v167, v167, v247                             // 00000000E6C0: 0B4FEFA7
	v_mul_f32_e64 v4, -v168, s6                                // 00000000E6C4: D1050004 20000DA8
	v_mul_f32_e64 v5, -v169, s6                                // 00000000E6CC: D1050005 20000DA9
	v_mul_f32_e64 v6, -v170, s6                                // 00000000E6D4: D1050006 20000DAA
	v_mul_f32_e64 v7, -v171, s6                                // 00000000E6DC: D1050007 20000DAB
	v_exp_f32_e32 v4, v4                                       // 00000000E6E4: 7E084104
	v_exp_f32_e32 v5, v5                                       // 00000000E6E8: 7E0A4105
	v_exp_f32_e32 v6, v6                                       // 00000000E6EC: 7E0C4106
	v_exp_f32_e32 v7, v7                                       // 00000000E6F0: 7E0E4107
	v_add_f32_e64 v4, v4, 1.0                                  // 00000000E6F4: D1010004 0001E504
	v_add_f32_e64 v5, v5, 1.0                                  // 00000000E6FC: D1010005 0001E505
	v_add_f32_e64 v6, v6, 1.0                                  // 00000000E704: D1010006 0001E506
	v_add_f32_e64 v7, v7, 1.0                                  // 00000000E70C: D1010007 0001E507
	v_rcp_f32_e32 v4, v4                                       // 00000000E714: 7E084504
	v_rcp_f32_e32 v5, v5                                       // 00000000E718: 7E0A4505
	v_rcp_f32_e32 v6, v6                                       // 00000000E71C: 7E0C4506
	v_rcp_f32_e32 v7, v7                                       // 00000000E720: 7E0E4507
	v_mul_f32_e32 v168, v168, v4                               // 00000000E724: 0B5009A8
	v_mul_f32_e32 v169, v169, v5                               // 00000000E728: 0B520BA9
	v_mul_f32_e32 v170, v170, v6                               // 00000000E72C: 0B540DAA
	v_mul_f32_e32 v171, v171, v7                               // 00000000E730: 0B560FAB
	v_mul_f32_e32 v168, v168, v248                             // 00000000E734: 0B51F1A8
	v_mul_f32_e32 v169, v169, v249                             // 00000000E738: 0B53F3A9
	v_mul_f32_e32 v170, v170, v250                             // 00000000E73C: 0B55F5AA
	v_mul_f32_e32 v171, v171, v251                             // 00000000E740: 0B57F7AB

000000000000e744 <label_2F54>:
	s_cmp_eq_u32 s7, 0                                         // 00000000E744: BF068007
	s_cbranch_scc0 label_2F76                                  // 00000000E748: BF840020
	v_and_b32_e32 v4, 15, v0                                   // 00000000E74C: 2608008F
	v_lshlrev_b32_e32 v4, 2, v4                                // 00000000E750: 24080882
	buffer_load_dword v28, v4, s[12:15], 0 offen               // 00000000E754: E0501000 80031C04
	v_add_u32_e32 v4, 64, v4                                   // 00000000E75C: 680808C0
	buffer_load_dword v29, v4, s[12:15], 0 offen               // 00000000E760: E0501000 80031D04
	v_add_u32_e32 v4, 64, v4                                   // 00000000E768: 680808C0
	buffer_load_dword v30, v4, s[12:15], 0 offen               // 00000000E76C: E0501000 80031E04
	v_add_u32_e32 v4, 64, v4                                   // 00000000E774: 680808C0
	buffer_load_dword v31, v4, s[12:15], 0 offen               // 00000000E778: E0501000 80031F04
	v_add_u32_e32 v4, 64, v4                                   // 00000000E780: 680808C0
	buffer_load_dword v32, v4, s[12:15], 0 offen               // 00000000E784: E0501000 80032004
	v_add_u32_e32 v4, 64, v4                                   // 00000000E78C: 680808C0
	buffer_load_dword v33, v4, s[12:15], 0 offen               // 00000000E790: E0501000 80032104
	v_add_u32_e32 v4, 64, v4                                   // 00000000E798: 680808C0
	buffer_load_dword v34, v4, s[12:15], 0 offen               // 00000000E79C: E0501000 80032204
	v_add_u32_e32 v4, 64, v4                                   // 00000000E7A4: 680808C0
	buffer_load_dword v35, v4, s[12:15], 0 offen               // 00000000E7A8: E0501000 80032304
	v_add_u32_e32 v4, 64, v4                                   // 00000000E7B0: 680808C0
	buffer_load_dword v36, v4, s[12:15], 0 offen               // 00000000E7B4: E0501000 80032404
	v_add_u32_e32 v4, 64, v4                                   // 00000000E7BC: 680808C0
	buffer_load_dword v37, v4, s[12:15], 0 offen               // 00000000E7C0: E0501000 80032504
	v_add_u32_e32 v4, 64, v4                                   // 00000000E7C8: 680808C0

000000000000e7cc <label_2F76>:
	v_lshlrev_b32_e32 v4, 2, v0                                // 00000000E7CC: 24080082
	s_mul_i32 s60, 0x100, s7                                   // 00000000E7D0: 923C07FF 00000100
	v_add_u32_e32 v182, s60, v4                                // 00000000E7D8: 696C083C
	v_and_b32_e32 v4, 15, v0                                   // 00000000E7DC: 2608008F
	v_lshlrev_b32_e32 v183, 2, v4                              // 00000000E7E0: 256E0882
	s_waitcnt lgkmcnt(0)                                       // 00000000E7E4: BF8CC07F
	s_barrier                                                  // 00000000E7E8: BF8A0000
	v_mov_b32_e32 v172, 0x358637bd                             // 00000000E7EC: 7F5802FF 358637BD
	v_max3_f32 v172, |v92|, |v93|, v172                        // 00000000E7F4: D1D303AC 06B2BB5C
	v_max3_f32 v172, |v94|, |v95|, v172                        // 00000000E7FC: D1D303AC 06B2BF5E
	v_max3_f32 v172, |v132|, |v133|, v172                      // 00000000E804: D1D303AC 06B30B84
	v_max3_f32 v172, |v134|, |v135|, v172                      // 00000000E80C: D1D303AC 06B30F86
	ds_write_b32 v182, v172                                    // 00000000E814: D81A0000 0000ACB6
	s_waitcnt lgkmcnt(0)                                       // 00000000E81C: BF8CC07F
	s_barrier                                                  // 00000000E820: BF8A0000
	ds_read_b32 v4, v183                                       // 00000000E824: D86C0000 040000B7
	ds_read_b32 v5, v183 offset:64                             // 00000000E82C: D86C0040 050000B7
	ds_read_b32 v6, v183 offset:128                            // 00000000E834: D86C0080 060000B7
	ds_read_b32 v7, v183 offset:192                            // 00000000E83C: D86C00C0 070000B7
	ds_read_b32 v8, v183 offset:256                            // 00000000E844: D86C0100 080000B7
	ds_read_b32 v9, v183 offset:320                            // 00000000E84C: D86C0140 090000B7
	ds_read_b32 v10, v183 offset:384                           // 00000000E854: D86C0180 0A0000B7
	ds_read_b32 v11, v183 offset:448                           // 00000000E85C: D86C01C0 0B0000B7
	ds_read_b32 v12, v183 offset:512                           // 00000000E864: D86C0200 0C0000B7
	ds_read_b32 v13, v183 offset:576                           // 00000000E86C: D86C0240 0D0000B7
	ds_read_b32 v14, v183 offset:640                           // 00000000E874: D86C0280 0E0000B7
	ds_read_b32 v15, v183 offset:704                           // 00000000E87C: D86C02C0 0F0000B7
	ds_read_b32 v16, v183 offset:768                           // 00000000E884: D86C0300 100000B7
	ds_read_b32 v17, v183 offset:832                           // 00000000E88C: D86C0340 110000B7
	ds_read_b32 v18, v183 offset:896                           // 00000000E894: D86C0380 120000B7
	ds_read_b32 v19, v183 offset:960                           // 00000000E89C: D86C03C0 130000B7
	s_waitcnt lgkmcnt(0)                                       // 00000000E8A4: BF8CC07F
	s_barrier                                                  // 00000000E8A8: BF8A0000
	v_max3_f32 v172, |v4|, |v5|, v172                          // 00000000E8AC: D1D303AC 06B20B04
	v_max3_f32 v172, |v6|, |v7|, v172                          // 00000000E8B4: D1D303AC 06B20F06
	v_max3_f32 v172, |v8|, |v9|, v172                          // 00000000E8BC: D1D303AC 06B21308
	v_max3_f32 v172, |v10|, |v11|, v172                        // 00000000E8C4: D1D303AC 06B2170A
	v_max3_f32 v172, |v12|, |v13|, v172                        // 00000000E8CC: D1D303AC 06B21B0C
	v_max3_f32 v172, |v14|, |v15|, v172                        // 00000000E8D4: D1D303AC 06B21F0E
	v_max3_f32 v172, |v16|, |v17|, v172                        // 00000000E8DC: D1D303AC 06B22310
	v_max3_f32 v172, |v18|, |v19|, v172                        // 00000000E8E4: D1D303AC 06B22712
	v_rcp_f32_e32 v172, v172                                   // 00000000E8EC: 7F5845AC
	v_mov_b32_e32 v4, 0x43700000                               // 00000000E8F0: 7E0802FF 43700000
	v_mul_f32_e32 v172, v4, v172                               // 00000000E8F8: 0B595904
	v_mov_b32_e32 v4, v172                                     // 00000000E8FC: 7E0803AC
	v_mov_b32_e32 v5, v4                                       // 00000000E900: 7E0A0304
	v_pk_mul_f32 v[92:93], v[4:5], v[92:93]                    // 00000000E904: D3B1405C 1802B904
	v_pk_mul_f32 v[94:95], v[4:5], v[94:95]                    // 00000000E90C: D3B1405E 1802BD04
	v_cvt_pk_fp8_f32 v92, v92, v93                             // 00000000E914: D2A2005C 0002BB5C
	v_cvt_pk_fp8_f32 v92, v94, v95 op_sel:[0,0,1]              // 00000000E91C: D2A2405C 0002BF5E
	v_pk_mul_f32 v[132:133], v[4:5], v[132:133]                // 00000000E924: D3B14084 18030904
	v_pk_mul_f32 v[134:135], v[4:5], v[134:135]                // 00000000E92C: D3B14086 18030D04
	v_cvt_pk_fp8_f32 v132, v132, v133                          // 00000000E934: D2A20084 00030B84
	v_cvt_pk_fp8_f32 v132, v134, v135 op_sel:[0,0,1]           // 00000000E93C: D2A24084 00030F86
	v_rcp_f32_e32 v172, v172                                   // 00000000E944: 7F5845AC
	v_mov_b32_e32 v173, 0x358637bd                             // 00000000E948: 7F5A02FF 358637BD
	v_max3_f32 v173, |v96|, |v97|, v173                        // 00000000E950: D1D303AD 06B6C360
	v_max3_f32 v173, |v98|, |v99|, v173                        // 00000000E958: D1D303AD 06B6C762
	v_max3_f32 v173, |v136|, |v137|, v173                      // 00000000E960: D1D303AD 06B71388
	v_max3_f32 v173, |v138|, |v139|, v173                      // 00000000E968: D1D303AD 06B7178A
	ds_write_b32 v182, v173                                    // 00000000E970: D81A0000 0000ADB6
	s_waitcnt lgkmcnt(0)                                       // 00000000E978: BF8CC07F
	s_barrier                                                  // 00000000E97C: BF8A0000
	ds_read_b32 v4, v183                                       // 00000000E980: D86C0000 040000B7
	ds_read_b32 v5, v183 offset:64                             // 00000000E988: D86C0040 050000B7
	ds_read_b32 v6, v183 offset:128                            // 00000000E990: D86C0080 060000B7
	ds_read_b32 v7, v183 offset:192                            // 00000000E998: D86C00C0 070000B7
	ds_read_b32 v8, v183 offset:256                            // 00000000E9A0: D86C0100 080000B7
	ds_read_b32 v9, v183 offset:320                            // 00000000E9A8: D86C0140 090000B7
	ds_read_b32 v10, v183 offset:384                           // 00000000E9B0: D86C0180 0A0000B7
	ds_read_b32 v11, v183 offset:448                           // 00000000E9B8: D86C01C0 0B0000B7
	ds_read_b32 v12, v183 offset:512                           // 00000000E9C0: D86C0200 0C0000B7
	ds_read_b32 v13, v183 offset:576                           // 00000000E9C8: D86C0240 0D0000B7
	ds_read_b32 v14, v183 offset:640                           // 00000000E9D0: D86C0280 0E0000B7
	ds_read_b32 v15, v183 offset:704                           // 00000000E9D8: D86C02C0 0F0000B7
	ds_read_b32 v16, v183 offset:768                           // 00000000E9E0: D86C0300 100000B7
	ds_read_b32 v17, v183 offset:832                           // 00000000E9E8: D86C0340 110000B7
	ds_read_b32 v18, v183 offset:896                           // 00000000E9F0: D86C0380 120000B7
	ds_read_b32 v19, v183 offset:960                           // 00000000E9F8: D86C03C0 130000B7
	s_waitcnt lgkmcnt(0)                                       // 00000000EA00: BF8CC07F
	s_barrier                                                  // 00000000EA04: BF8A0000
	v_max3_f32 v173, |v4|, |v5|, v173                          // 00000000EA08: D1D303AD 06B60B04
	v_max3_f32 v173, |v6|, |v7|, v173                          // 00000000EA10: D1D303AD 06B60F06
	v_max3_f32 v173, |v8|, |v9|, v173                          // 00000000EA18: D1D303AD 06B61308
	v_max3_f32 v173, |v10|, |v11|, v173                        // 00000000EA20: D1D303AD 06B6170A
	v_max3_f32 v173, |v12|, |v13|, v173                        // 00000000EA28: D1D303AD 06B61B0C
	v_max3_f32 v173, |v14|, |v15|, v173                        // 00000000EA30: D1D303AD 06B61F0E
	v_max3_f32 v173, |v16|, |v17|, v173                        // 00000000EA38: D1D303AD 06B62310
	v_max3_f32 v173, |v18|, |v19|, v173                        // 00000000EA40: D1D303AD 06B62712
	v_rcp_f32_e32 v173, v173                                   // 00000000EA48: 7F5A45AD
	v_mov_b32_e32 v4, 0x43700000                               // 00000000EA4C: 7E0802FF 43700000
	v_mul_f32_e32 v173, v4, v173                               // 00000000EA54: 0B5B5B04
	v_mov_b32_e32 v4, v173                                     // 00000000EA58: 7E0803AD
	v_mov_b32_e32 v5, v4                                       // 00000000EA5C: 7E0A0304
	v_pk_mul_f32 v[96:97], v[4:5], v[96:97]                    // 00000000EA60: D3B14060 1802C104
	v_pk_mul_f32 v[98:99], v[4:5], v[98:99]                    // 00000000EA68: D3B14062 1802C504
	v_cvt_pk_fp8_f32 v96, v96, v97                             // 00000000EA70: D2A20060 0002C360
	v_cvt_pk_fp8_f32 v96, v98, v99 op_sel:[0,0,1]              // 00000000EA78: D2A24060 0002C762
	v_pk_mul_f32 v[136:137], v[4:5], v[136:137]                // 00000000EA80: D3B14088 18031104
	v_pk_mul_f32 v[138:139], v[4:5], v[138:139]                // 00000000EA88: D3B1408A 18031504
	v_cvt_pk_fp8_f32 v136, v136, v137                          // 00000000EA90: D2A20088 00031388
	v_cvt_pk_fp8_f32 v136, v138, v139 op_sel:[0,0,1]           // 00000000EA98: D2A24088 0003178A
	v_rcp_f32_e32 v173, v173                                   // 00000000EAA0: 7F5A45AD
	v_mov_b32_e32 v174, 0x358637bd                             // 00000000EAA4: 7F5C02FF 358637BD
	v_max3_f32 v174, |v100|, |v101|, v174                      // 00000000EAAC: D1D303AE 06BACB64
	v_max3_f32 v174, |v102|, |v103|, v174                      // 00000000EAB4: D1D303AE 06BACF66
	v_max3_f32 v174, |v140|, |v141|, v174                      // 00000000EABC: D1D303AE 06BB1B8C
	v_max3_f32 v174, |v142|, |v143|, v174                      // 00000000EAC4: D1D303AE 06BB1F8E
	ds_write_b32 v182, v174                                    // 00000000EACC: D81A0000 0000AEB6
	s_waitcnt lgkmcnt(0)                                       // 00000000EAD4: BF8CC07F
	s_barrier                                                  // 00000000EAD8: BF8A0000
	ds_read_b32 v4, v183                                       // 00000000EADC: D86C0000 040000B7
	ds_read_b32 v5, v183 offset:64                             // 00000000EAE4: D86C0040 050000B7
	ds_read_b32 v6, v183 offset:128                            // 00000000EAEC: D86C0080 060000B7
	ds_read_b32 v7, v183 offset:192                            // 00000000EAF4: D86C00C0 070000B7
	ds_read_b32 v8, v183 offset:256                            // 00000000EAFC: D86C0100 080000B7
	ds_read_b32 v9, v183 offset:320                            // 00000000EB04: D86C0140 090000B7
	ds_read_b32 v10, v183 offset:384                           // 00000000EB0C: D86C0180 0A0000B7
	ds_read_b32 v11, v183 offset:448                           // 00000000EB14: D86C01C0 0B0000B7
	ds_read_b32 v12, v183 offset:512                           // 00000000EB1C: D86C0200 0C0000B7
	ds_read_b32 v13, v183 offset:576                           // 00000000EB24: D86C0240 0D0000B7
	ds_read_b32 v14, v183 offset:640                           // 00000000EB2C: D86C0280 0E0000B7
	ds_read_b32 v15, v183 offset:704                           // 00000000EB34: D86C02C0 0F0000B7
	ds_read_b32 v16, v183 offset:768                           // 00000000EB3C: D86C0300 100000B7
	ds_read_b32 v17, v183 offset:832                           // 00000000EB44: D86C0340 110000B7
	ds_read_b32 v18, v183 offset:896                           // 00000000EB4C: D86C0380 120000B7
	ds_read_b32 v19, v183 offset:960                           // 00000000EB54: D86C03C0 130000B7
	s_waitcnt lgkmcnt(0)                                       // 00000000EB5C: BF8CC07F
	s_barrier                                                  // 00000000EB60: BF8A0000
	v_max3_f32 v174, |v4|, |v5|, v174                          // 00000000EB64: D1D303AE 06BA0B04
	v_max3_f32 v174, |v6|, |v7|, v174                          // 00000000EB6C: D1D303AE 06BA0F06
	v_max3_f32 v174, |v8|, |v9|, v174                          // 00000000EB74: D1D303AE 06BA1308
	v_max3_f32 v174, |v10|, |v11|, v174                        // 00000000EB7C: D1D303AE 06BA170A
	v_max3_f32 v174, |v12|, |v13|, v174                        // 00000000EB84: D1D303AE 06BA1B0C
	v_max3_f32 v174, |v14|, |v15|, v174                        // 00000000EB8C: D1D303AE 06BA1F0E
	v_max3_f32 v174, |v16|, |v17|, v174                        // 00000000EB94: D1D303AE 06BA2310
	v_max3_f32 v174, |v18|, |v19|, v174                        // 00000000EB9C: D1D303AE 06BA2712
	v_rcp_f32_e32 v174, v174                                   // 00000000EBA4: 7F5C45AE
	v_mov_b32_e32 v4, 0x43700000                               // 00000000EBA8: 7E0802FF 43700000
	v_mul_f32_e32 v174, v4, v174                               // 00000000EBB0: 0B5D5D04
	v_mov_b32_e32 v4, v174                                     // 00000000EBB4: 7E0803AE
	v_mov_b32_e32 v5, v4                                       // 00000000EBB8: 7E0A0304
	v_pk_mul_f32 v[100:101], v[4:5], v[100:101]                // 00000000EBBC: D3B14064 1802C904
	v_pk_mul_f32 v[102:103], v[4:5], v[102:103]                // 00000000EBC4: D3B14066 1802CD04
	v_cvt_pk_fp8_f32 v100, v100, v101                          // 00000000EBCC: D2A20064 0002CB64
	v_cvt_pk_fp8_f32 v100, v102, v103 op_sel:[0,0,1]           // 00000000EBD4: D2A24064 0002CF66
	v_pk_mul_f32 v[140:141], v[4:5], v[140:141]                // 00000000EBDC: D3B1408C 18031904
	v_pk_mul_f32 v[142:143], v[4:5], v[142:143]                // 00000000EBE4: D3B1408E 18031D04
	v_cvt_pk_fp8_f32 v140, v140, v141                          // 00000000EBEC: D2A2008C 00031B8C
	v_cvt_pk_fp8_f32 v140, v142, v143 op_sel:[0,0,1]           // 00000000EBF4: D2A2408C 00031F8E
	v_rcp_f32_e32 v174, v174                                   // 00000000EBFC: 7F5C45AE
	v_mov_b32_e32 v175, 0x358637bd                             // 00000000EC00: 7F5E02FF 358637BD
	v_max3_f32 v175, |v104|, |v105|, v175                      // 00000000EC08: D1D303AF 06BED368
	v_max3_f32 v175, |v106|, |v107|, v175                      // 00000000EC10: D1D303AF 06BED76A
	v_max3_f32 v175, |v144|, |v145|, v175                      // 00000000EC18: D1D303AF 06BF2390
	v_max3_f32 v175, |v146|, |v147|, v175                      // 00000000EC20: D1D303AF 06BF2792
	ds_write_b32 v182, v175                                    // 00000000EC28: D81A0000 0000AFB6
	s_waitcnt lgkmcnt(0)                                       // 00000000EC30: BF8CC07F
	s_barrier                                                  // 00000000EC34: BF8A0000
	ds_read_b32 v4, v183                                       // 00000000EC38: D86C0000 040000B7
	ds_read_b32 v5, v183 offset:64                             // 00000000EC40: D86C0040 050000B7
	ds_read_b32 v6, v183 offset:128                            // 00000000EC48: D86C0080 060000B7
	ds_read_b32 v7, v183 offset:192                            // 00000000EC50: D86C00C0 070000B7
	ds_read_b32 v8, v183 offset:256                            // 00000000EC58: D86C0100 080000B7
	ds_read_b32 v9, v183 offset:320                            // 00000000EC60: D86C0140 090000B7
	ds_read_b32 v10, v183 offset:384                           // 00000000EC68: D86C0180 0A0000B7
	ds_read_b32 v11, v183 offset:448                           // 00000000EC70: D86C01C0 0B0000B7
	ds_read_b32 v12, v183 offset:512                           // 00000000EC78: D86C0200 0C0000B7
	ds_read_b32 v13, v183 offset:576                           // 00000000EC80: D86C0240 0D0000B7
	ds_read_b32 v14, v183 offset:640                           // 00000000EC88: D86C0280 0E0000B7
	ds_read_b32 v15, v183 offset:704                           // 00000000EC90: D86C02C0 0F0000B7
	ds_read_b32 v16, v183 offset:768                           // 00000000EC98: D86C0300 100000B7
	ds_read_b32 v17, v183 offset:832                           // 00000000ECA0: D86C0340 110000B7
	ds_read_b32 v18, v183 offset:896                           // 00000000ECA8: D86C0380 120000B7
	ds_read_b32 v19, v183 offset:960                           // 00000000ECB0: D86C03C0 130000B7
	s_waitcnt lgkmcnt(0)                                       // 00000000ECB8: BF8CC07F
	s_barrier                                                  // 00000000ECBC: BF8A0000
	v_max3_f32 v175, |v4|, |v5|, v175                          // 00000000ECC0: D1D303AF 06BE0B04
	v_max3_f32 v175, |v6|, |v7|, v175                          // 00000000ECC8: D1D303AF 06BE0F06
	v_max3_f32 v175, |v8|, |v9|, v175                          // 00000000ECD0: D1D303AF 06BE1308
	v_max3_f32 v175, |v10|, |v11|, v175                        // 00000000ECD8: D1D303AF 06BE170A
	v_max3_f32 v175, |v12|, |v13|, v175                        // 00000000ECE0: D1D303AF 06BE1B0C
	v_max3_f32 v175, |v14|, |v15|, v175                        // 00000000ECE8: D1D303AF 06BE1F0E
	v_max3_f32 v175, |v16|, |v17|, v175                        // 00000000ECF0: D1D303AF 06BE2310
	v_max3_f32 v175, |v18|, |v19|, v175                        // 00000000ECF8: D1D303AF 06BE2712
	v_rcp_f32_e32 v175, v175                                   // 00000000ED00: 7F5E45AF
	v_mov_b32_e32 v4, 0x43700000                               // 00000000ED04: 7E0802FF 43700000
	v_mul_f32_e32 v175, v4, v175                               // 00000000ED0C: 0B5F5F04
	v_mov_b32_e32 v4, v175                                     // 00000000ED10: 7E0803AF
	v_mov_b32_e32 v5, v4                                       // 00000000ED14: 7E0A0304
	v_pk_mul_f32 v[104:105], v[4:5], v[104:105]                // 00000000ED18: D3B14068 1802D104
	v_pk_mul_f32 v[106:107], v[4:5], v[106:107]                // 00000000ED20: D3B1406A 1802D504
	v_cvt_pk_fp8_f32 v104, v104, v105                          // 00000000ED28: D2A20068 0002D368
	v_cvt_pk_fp8_f32 v104, v106, v107 op_sel:[0,0,1]           // 00000000ED30: D2A24068 0002D76A
	v_pk_mul_f32 v[144:145], v[4:5], v[144:145]                // 00000000ED38: D3B14090 18032104
	v_pk_mul_f32 v[146:147], v[4:5], v[146:147]                // 00000000ED40: D3B14092 18032504
	v_cvt_pk_fp8_f32 v144, v144, v145                          // 00000000ED48: D2A20090 00032390
	v_cvt_pk_fp8_f32 v144, v146, v147 op_sel:[0,0,1]           // 00000000ED50: D2A24090 00032792
	v_rcp_f32_e32 v175, v175                                   // 00000000ED58: 7F5E45AF
	v_mov_b32_e32 v176, 0x358637bd                             // 00000000ED5C: 7F6002FF 358637BD
	v_max3_f32 v176, |v108|, |v109|, v176                      // 00000000ED64: D1D303B0 06C2DB6C
	v_max3_f32 v176, |v110|, |v111|, v176                      // 00000000ED6C: D1D303B0 06C2DF6E
	v_max3_f32 v176, |v148|, |v149|, v176                      // 00000000ED74: D1D303B0 06C32B94
	v_max3_f32 v176, |v150|, |v151|, v176                      // 00000000ED7C: D1D303B0 06C32F96
	ds_write_b32 v182, v176                                    // 00000000ED84: D81A0000 0000B0B6
	s_waitcnt lgkmcnt(0)                                       // 00000000ED8C: BF8CC07F
	s_barrier                                                  // 00000000ED90: BF8A0000
	ds_read_b32 v4, v183                                       // 00000000ED94: D86C0000 040000B7
	ds_read_b32 v5, v183 offset:64                             // 00000000ED9C: D86C0040 050000B7
	ds_read_b32 v6, v183 offset:128                            // 00000000EDA4: D86C0080 060000B7
	ds_read_b32 v7, v183 offset:192                            // 00000000EDAC: D86C00C0 070000B7
	ds_read_b32 v8, v183 offset:256                            // 00000000EDB4: D86C0100 080000B7
	ds_read_b32 v9, v183 offset:320                            // 00000000EDBC: D86C0140 090000B7
	ds_read_b32 v10, v183 offset:384                           // 00000000EDC4: D86C0180 0A0000B7
	ds_read_b32 v11, v183 offset:448                           // 00000000EDCC: D86C01C0 0B0000B7
	ds_read_b32 v12, v183 offset:512                           // 00000000EDD4: D86C0200 0C0000B7
	ds_read_b32 v13, v183 offset:576                           // 00000000EDDC: D86C0240 0D0000B7
	ds_read_b32 v14, v183 offset:640                           // 00000000EDE4: D86C0280 0E0000B7
	ds_read_b32 v15, v183 offset:704                           // 00000000EDEC: D86C02C0 0F0000B7
	ds_read_b32 v16, v183 offset:768                           // 00000000EDF4: D86C0300 100000B7
	ds_read_b32 v17, v183 offset:832                           // 00000000EDFC: D86C0340 110000B7
	ds_read_b32 v18, v183 offset:896                           // 00000000EE04: D86C0380 120000B7
	ds_read_b32 v19, v183 offset:960                           // 00000000EE0C: D86C03C0 130000B7
	s_waitcnt lgkmcnt(0)                                       // 00000000EE14: BF8CC07F
	s_barrier                                                  // 00000000EE18: BF8A0000
	v_max3_f32 v176, |v4|, |v5|, v176                          // 00000000EE1C: D1D303B0 06C20B04
	v_max3_f32 v176, |v6|, |v7|, v176                          // 00000000EE24: D1D303B0 06C20F06
	v_max3_f32 v176, |v8|, |v9|, v176                          // 00000000EE2C: D1D303B0 06C21308
	v_max3_f32 v176, |v10|, |v11|, v176                        // 00000000EE34: D1D303B0 06C2170A
	v_max3_f32 v176, |v12|, |v13|, v176                        // 00000000EE3C: D1D303B0 06C21B0C
	v_max3_f32 v176, |v14|, |v15|, v176                        // 00000000EE44: D1D303B0 06C21F0E
	v_max3_f32 v176, |v16|, |v17|, v176                        // 00000000EE4C: D1D303B0 06C22310
	v_max3_f32 v176, |v18|, |v19|, v176                        // 00000000EE54: D1D303B0 06C22712
	v_rcp_f32_e32 v176, v176                                   // 00000000EE5C: 7F6045B0
	v_mov_b32_e32 v4, 0x43700000                               // 00000000EE60: 7E0802FF 43700000
	v_mul_f32_e32 v176, v4, v176                               // 00000000EE68: 0B616104
	v_mov_b32_e32 v4, v176                                     // 00000000EE6C: 7E0803B0
	v_mov_b32_e32 v5, v4                                       // 00000000EE70: 7E0A0304
	v_pk_mul_f32 v[108:109], v[4:5], v[108:109]                // 00000000EE74: D3B1406C 1802D904
	v_pk_mul_f32 v[110:111], v[4:5], v[110:111]                // 00000000EE7C: D3B1406E 1802DD04
	v_cvt_pk_fp8_f32 v108, v108, v109                          // 00000000EE84: D2A2006C 0002DB6C
	v_cvt_pk_fp8_f32 v108, v110, v111 op_sel:[0,0,1]           // 00000000EE8C: D2A2406C 0002DF6E
	v_pk_mul_f32 v[148:149], v[4:5], v[148:149]                // 00000000EE94: D3B14094 18032904
	v_pk_mul_f32 v[150:151], v[4:5], v[150:151]                // 00000000EE9C: D3B14096 18032D04
	v_cvt_pk_fp8_f32 v148, v148, v149                          // 00000000EEA4: D2A20094 00032B94
	v_cvt_pk_fp8_f32 v148, v150, v151 op_sel:[0,0,1]           // 00000000EEAC: D2A24094 00032F96
	v_rcp_f32_e32 v176, v176                                   // 00000000EEB4: 7F6045B0
	v_mov_b32_e32 v177, 0x358637bd                             // 00000000EEB8: 7F6202FF 358637BD
	v_max3_f32 v177, |v112|, |v113|, v177                      // 00000000EEC0: D1D303B1 06C6E370
	v_max3_f32 v177, |v114|, |v115|, v177                      // 00000000EEC8: D1D303B1 06C6E772
	v_max3_f32 v177, |v152|, |v153|, v177                      // 00000000EED0: D1D303B1 06C73398
	v_max3_f32 v177, |v154|, |v155|, v177                      // 00000000EED8: D1D303B1 06C7379A
	ds_write_b32 v182, v177                                    // 00000000EEE0: D81A0000 0000B1B6
	s_waitcnt lgkmcnt(0)                                       // 00000000EEE8: BF8CC07F
	s_barrier                                                  // 00000000EEEC: BF8A0000
	ds_read_b32 v4, v183                                       // 00000000EEF0: D86C0000 040000B7
	ds_read_b32 v5, v183 offset:64                             // 00000000EEF8: D86C0040 050000B7
	ds_read_b32 v6, v183 offset:128                            // 00000000EF00: D86C0080 060000B7
	ds_read_b32 v7, v183 offset:192                            // 00000000EF08: D86C00C0 070000B7
	ds_read_b32 v8, v183 offset:256                            // 00000000EF10: D86C0100 080000B7
	ds_read_b32 v9, v183 offset:320                            // 00000000EF18: D86C0140 090000B7
	ds_read_b32 v10, v183 offset:384                           // 00000000EF20: D86C0180 0A0000B7
	ds_read_b32 v11, v183 offset:448                           // 00000000EF28: D86C01C0 0B0000B7
	ds_read_b32 v12, v183 offset:512                           // 00000000EF30: D86C0200 0C0000B7
	ds_read_b32 v13, v183 offset:576                           // 00000000EF38: D86C0240 0D0000B7
	ds_read_b32 v14, v183 offset:640                           // 00000000EF40: D86C0280 0E0000B7
	ds_read_b32 v15, v183 offset:704                           // 00000000EF48: D86C02C0 0F0000B7
	ds_read_b32 v16, v183 offset:768                           // 00000000EF50: D86C0300 100000B7
	ds_read_b32 v17, v183 offset:832                           // 00000000EF58: D86C0340 110000B7
	ds_read_b32 v18, v183 offset:896                           // 00000000EF60: D86C0380 120000B7
	ds_read_b32 v19, v183 offset:960                           // 00000000EF68: D86C03C0 130000B7
	s_waitcnt lgkmcnt(0)                                       // 00000000EF70: BF8CC07F
	s_barrier                                                  // 00000000EF74: BF8A0000
	v_max3_f32 v177, |v4|, |v5|, v177                          // 00000000EF78: D1D303B1 06C60B04
	v_max3_f32 v177, |v6|, |v7|, v177                          // 00000000EF80: D1D303B1 06C60F06
	v_max3_f32 v177, |v8|, |v9|, v177                          // 00000000EF88: D1D303B1 06C61308
	v_max3_f32 v177, |v10|, |v11|, v177                        // 00000000EF90: D1D303B1 06C6170A
	v_max3_f32 v177, |v12|, |v13|, v177                        // 00000000EF98: D1D303B1 06C61B0C
	v_max3_f32 v177, |v14|, |v15|, v177                        // 00000000EFA0: D1D303B1 06C61F0E
	v_max3_f32 v177, |v16|, |v17|, v177                        // 00000000EFA8: D1D303B1 06C62310
	v_max3_f32 v177, |v18|, |v19|, v177                        // 00000000EFB0: D1D303B1 06C62712
	v_rcp_f32_e32 v177, v177                                   // 00000000EFB8: 7F6245B1
	v_mov_b32_e32 v4, 0x43700000                               // 00000000EFBC: 7E0802FF 43700000
	v_mul_f32_e32 v177, v4, v177                               // 00000000EFC4: 0B636304
	v_mov_b32_e32 v4, v177                                     // 00000000EFC8: 7E0803B1
	v_mov_b32_e32 v5, v4                                       // 00000000EFCC: 7E0A0304
	v_pk_mul_f32 v[112:113], v[4:5], v[112:113]                // 00000000EFD0: D3B14070 1802E104
	v_pk_mul_f32 v[114:115], v[4:5], v[114:115]                // 00000000EFD8: D3B14072 1802E504
	v_cvt_pk_fp8_f32 v112, v112, v113                          // 00000000EFE0: D2A20070 0002E370
	v_cvt_pk_fp8_f32 v112, v114, v115 op_sel:[0,0,1]           // 00000000EFE8: D2A24070 0002E772
	v_pk_mul_f32 v[152:153], v[4:5], v[152:153]                // 00000000EFF0: D3B14098 18033104
	v_pk_mul_f32 v[154:155], v[4:5], v[154:155]                // 00000000EFF8: D3B1409A 18033504
	v_cvt_pk_fp8_f32 v152, v152, v153                          // 00000000F000: D2A20098 00033398
	v_cvt_pk_fp8_f32 v152, v154, v155 op_sel:[0,0,1]           // 00000000F008: D2A24098 0003379A
	v_rcp_f32_e32 v177, v177                                   // 00000000F010: 7F6245B1
	v_mov_b32_e32 v178, 0x358637bd                             // 00000000F014: 7F6402FF 358637BD
	v_max3_f32 v178, |v116|, |v117|, v178                      // 00000000F01C: D1D303B2 06CAEB74
	v_max3_f32 v178, |v118|, |v119|, v178                      // 00000000F024: D1D303B2 06CAEF76
	v_max3_f32 v178, |v156|, |v157|, v178                      // 00000000F02C: D1D303B2 06CB3B9C
	v_max3_f32 v178, |v158|, |v159|, v178                      // 00000000F034: D1D303B2 06CB3F9E
	ds_write_b32 v182, v178                                    // 00000000F03C: D81A0000 0000B2B6
	s_waitcnt lgkmcnt(0)                                       // 00000000F044: BF8CC07F
	s_barrier                                                  // 00000000F048: BF8A0000
	ds_read_b32 v4, v183                                       // 00000000F04C: D86C0000 040000B7
	ds_read_b32 v5, v183 offset:64                             // 00000000F054: D86C0040 050000B7
	ds_read_b32 v6, v183 offset:128                            // 00000000F05C: D86C0080 060000B7
	ds_read_b32 v7, v183 offset:192                            // 00000000F064: D86C00C0 070000B7
	ds_read_b32 v8, v183 offset:256                            // 00000000F06C: D86C0100 080000B7
	ds_read_b32 v9, v183 offset:320                            // 00000000F074: D86C0140 090000B7
	ds_read_b32 v10, v183 offset:384                           // 00000000F07C: D86C0180 0A0000B7
	ds_read_b32 v11, v183 offset:448                           // 00000000F084: D86C01C0 0B0000B7
	ds_read_b32 v12, v183 offset:512                           // 00000000F08C: D86C0200 0C0000B7
	ds_read_b32 v13, v183 offset:576                           // 00000000F094: D86C0240 0D0000B7
	ds_read_b32 v14, v183 offset:640                           // 00000000F09C: D86C0280 0E0000B7
	ds_read_b32 v15, v183 offset:704                           // 00000000F0A4: D86C02C0 0F0000B7
	ds_read_b32 v16, v183 offset:768                           // 00000000F0AC: D86C0300 100000B7
	ds_read_b32 v17, v183 offset:832                           // 00000000F0B4: D86C0340 110000B7
	ds_read_b32 v18, v183 offset:896                           // 00000000F0BC: D86C0380 120000B7
	ds_read_b32 v19, v183 offset:960                           // 00000000F0C4: D86C03C0 130000B7
	s_waitcnt lgkmcnt(0)                                       // 00000000F0CC: BF8CC07F
	s_barrier                                                  // 00000000F0D0: BF8A0000
	v_max3_f32 v178, |v4|, |v5|, v178                          // 00000000F0D4: D1D303B2 06CA0B04
	v_max3_f32 v178, |v6|, |v7|, v178                          // 00000000F0DC: D1D303B2 06CA0F06
	v_max3_f32 v178, |v8|, |v9|, v178                          // 00000000F0E4: D1D303B2 06CA1308
	v_max3_f32 v178, |v10|, |v11|, v178                        // 00000000F0EC: D1D303B2 06CA170A
	v_max3_f32 v178, |v12|, |v13|, v178                        // 00000000F0F4: D1D303B2 06CA1B0C
	v_max3_f32 v178, |v14|, |v15|, v178                        // 00000000F0FC: D1D303B2 06CA1F0E
	v_max3_f32 v178, |v16|, |v17|, v178                        // 00000000F104: D1D303B2 06CA2310
	v_max3_f32 v178, |v18|, |v19|, v178                        // 00000000F10C: D1D303B2 06CA2712
	v_rcp_f32_e32 v178, v178                                   // 00000000F114: 7F6445B2
	v_mov_b32_e32 v4, 0x43700000                               // 00000000F118: 7E0802FF 43700000
	v_mul_f32_e32 v178, v4, v178                               // 00000000F120: 0B656504
	v_mov_b32_e32 v4, v178                                     // 00000000F124: 7E0803B2
	v_mov_b32_e32 v5, v4                                       // 00000000F128: 7E0A0304
	v_pk_mul_f32 v[116:117], v[4:5], v[116:117]                // 00000000F12C: D3B14074 1802E904
	v_pk_mul_f32 v[118:119], v[4:5], v[118:119]                // 00000000F134: D3B14076 1802ED04
	v_cvt_pk_fp8_f32 v116, v116, v117                          // 00000000F13C: D2A20074 0002EB74
	v_cvt_pk_fp8_f32 v116, v118, v119 op_sel:[0,0,1]           // 00000000F144: D2A24074 0002EF76
	v_pk_mul_f32 v[156:157], v[4:5], v[156:157]                // 00000000F14C: D3B1409C 18033904
	v_pk_mul_f32 v[158:159], v[4:5], v[158:159]                // 00000000F154: D3B1409E 18033D04
	v_cvt_pk_fp8_f32 v156, v156, v157                          // 00000000F15C: D2A2009C 00033B9C
	v_cvt_pk_fp8_f32 v156, v158, v159 op_sel:[0,0,1]           // 00000000F164: D2A2409C 00033F9E
	v_rcp_f32_e32 v178, v178                                   // 00000000F16C: 7F6445B2
	v_mov_b32_e32 v179, 0x358637bd                             // 00000000F170: 7F6602FF 358637BD
	v_max3_f32 v179, |v120|, |v121|, v179                      // 00000000F178: D1D303B3 06CEF378
	v_max3_f32 v179, |v122|, |v123|, v179                      // 00000000F180: D1D303B3 06CEF77A
	v_max3_f32 v179, |v160|, |v161|, v179                      // 00000000F188: D1D303B3 06CF43A0
	v_max3_f32 v179, |v162|, |v163|, v179                      // 00000000F190: D1D303B3 06CF47A2
	ds_write_b32 v182, v179                                    // 00000000F198: D81A0000 0000B3B6
	s_waitcnt lgkmcnt(0)                                       // 00000000F1A0: BF8CC07F
	s_barrier                                                  // 00000000F1A4: BF8A0000
	ds_read_b32 v4, v183                                       // 00000000F1A8: D86C0000 040000B7
	ds_read_b32 v5, v183 offset:64                             // 00000000F1B0: D86C0040 050000B7
	ds_read_b32 v6, v183 offset:128                            // 00000000F1B8: D86C0080 060000B7
	ds_read_b32 v7, v183 offset:192                            // 00000000F1C0: D86C00C0 070000B7
	ds_read_b32 v8, v183 offset:256                            // 00000000F1C8: D86C0100 080000B7
	ds_read_b32 v9, v183 offset:320                            // 00000000F1D0: D86C0140 090000B7
	ds_read_b32 v10, v183 offset:384                           // 00000000F1D8: D86C0180 0A0000B7
	ds_read_b32 v11, v183 offset:448                           // 00000000F1E0: D86C01C0 0B0000B7
	ds_read_b32 v12, v183 offset:512                           // 00000000F1E8: D86C0200 0C0000B7
	ds_read_b32 v13, v183 offset:576                           // 00000000F1F0: D86C0240 0D0000B7
	ds_read_b32 v14, v183 offset:640                           // 00000000F1F8: D86C0280 0E0000B7
	ds_read_b32 v15, v183 offset:704                           // 00000000F200: D86C02C0 0F0000B7
	ds_read_b32 v16, v183 offset:768                           // 00000000F208: D86C0300 100000B7
	ds_read_b32 v17, v183 offset:832                           // 00000000F210: D86C0340 110000B7
	ds_read_b32 v18, v183 offset:896                           // 00000000F218: D86C0380 120000B7
	ds_read_b32 v19, v183 offset:960                           // 00000000F220: D86C03C0 130000B7
	s_waitcnt lgkmcnt(0)                                       // 00000000F228: BF8CC07F
	s_barrier                                                  // 00000000F22C: BF8A0000
	v_max3_f32 v179, |v4|, |v5|, v179                          // 00000000F230: D1D303B3 06CE0B04
	v_max3_f32 v179, |v6|, |v7|, v179                          // 00000000F238: D1D303B3 06CE0F06
	v_max3_f32 v179, |v8|, |v9|, v179                          // 00000000F240: D1D303B3 06CE1308
	v_max3_f32 v179, |v10|, |v11|, v179                        // 00000000F248: D1D303B3 06CE170A
	v_max3_f32 v179, |v12|, |v13|, v179                        // 00000000F250: D1D303B3 06CE1B0C
	v_max3_f32 v179, |v14|, |v15|, v179                        // 00000000F258: D1D303B3 06CE1F0E
	v_max3_f32 v179, |v16|, |v17|, v179                        // 00000000F260: D1D303B3 06CE2310
	v_max3_f32 v179, |v18|, |v19|, v179                        // 00000000F268: D1D303B3 06CE2712
	v_rcp_f32_e32 v179, v179                                   // 00000000F270: 7F6645B3
	v_mov_b32_e32 v4, 0x43700000                               // 00000000F274: 7E0802FF 43700000
	v_mul_f32_e32 v179, v4, v179                               // 00000000F27C: 0B676704
	v_mov_b32_e32 v4, v179                                     // 00000000F280: 7E0803B3
	v_mov_b32_e32 v5, v4                                       // 00000000F284: 7E0A0304
	v_pk_mul_f32 v[120:121], v[4:5], v[120:121]                // 00000000F288: D3B14078 1802F104
	v_pk_mul_f32 v[122:123], v[4:5], v[122:123]                // 00000000F290: D3B1407A 1802F504
	v_cvt_pk_fp8_f32 v120, v120, v121                          // 00000000F298: D2A20078 0002F378
	v_cvt_pk_fp8_f32 v120, v122, v123 op_sel:[0,0,1]           // 00000000F2A0: D2A24078 0002F77A
	v_pk_mul_f32 v[160:161], v[4:5], v[160:161]                // 00000000F2A8: D3B140A0 18034104
	v_pk_mul_f32 v[162:163], v[4:5], v[162:163]                // 00000000F2B0: D3B140A2 18034504
	v_cvt_pk_fp8_f32 v160, v160, v161                          // 00000000F2B8: D2A200A0 000343A0
	v_cvt_pk_fp8_f32 v160, v162, v163 op_sel:[0,0,1]           // 00000000F2C0: D2A240A0 000347A2
	v_rcp_f32_e32 v179, v179                                   // 00000000F2C8: 7F6645B3
	v_mov_b32_e32 v180, 0x358637bd                             // 00000000F2CC: 7F6802FF 358637BD
	v_max3_f32 v180, |v124|, |v125|, v180                      // 00000000F2D4: D1D303B4 06D2FB7C
	v_max3_f32 v180, |v126|, |v127|, v180                      // 00000000F2DC: D1D303B4 06D2FF7E
	v_max3_f32 v180, |v164|, |v165|, v180                      // 00000000F2E4: D1D303B4 06D34BA4
	v_max3_f32 v180, |v166|, |v167|, v180                      // 00000000F2EC: D1D303B4 06D34FA6
	ds_write_b32 v182, v180                                    // 00000000F2F4: D81A0000 0000B4B6
	s_waitcnt lgkmcnt(0)                                       // 00000000F2FC: BF8CC07F
	s_barrier                                                  // 00000000F300: BF8A0000
	ds_read_b32 v4, v183                                       // 00000000F304: D86C0000 040000B7
	ds_read_b32 v5, v183 offset:64                             // 00000000F30C: D86C0040 050000B7
	ds_read_b32 v6, v183 offset:128                            // 00000000F314: D86C0080 060000B7
	ds_read_b32 v7, v183 offset:192                            // 00000000F31C: D86C00C0 070000B7
	ds_read_b32 v8, v183 offset:256                            // 00000000F324: D86C0100 080000B7
	ds_read_b32 v9, v183 offset:320                            // 00000000F32C: D86C0140 090000B7
	ds_read_b32 v10, v183 offset:384                           // 00000000F334: D86C0180 0A0000B7
	ds_read_b32 v11, v183 offset:448                           // 00000000F33C: D86C01C0 0B0000B7
	ds_read_b32 v12, v183 offset:512                           // 00000000F344: D86C0200 0C0000B7
	ds_read_b32 v13, v183 offset:576                           // 00000000F34C: D86C0240 0D0000B7
	ds_read_b32 v14, v183 offset:640                           // 00000000F354: D86C0280 0E0000B7
	ds_read_b32 v15, v183 offset:704                           // 00000000F35C: D86C02C0 0F0000B7
	ds_read_b32 v16, v183 offset:768                           // 00000000F364: D86C0300 100000B7
	ds_read_b32 v17, v183 offset:832                           // 00000000F36C: D86C0340 110000B7
	ds_read_b32 v18, v183 offset:896                           // 00000000F374: D86C0380 120000B7
	ds_read_b32 v19, v183 offset:960                           // 00000000F37C: D86C03C0 130000B7
	s_waitcnt lgkmcnt(0)                                       // 00000000F384: BF8CC07F
	s_barrier                                                  // 00000000F388: BF8A0000
	v_max3_f32 v180, |v4|, |v5|, v180                          // 00000000F38C: D1D303B4 06D20B04
	v_max3_f32 v180, |v6|, |v7|, v180                          // 00000000F394: D1D303B4 06D20F06
	v_max3_f32 v180, |v8|, |v9|, v180                          // 00000000F39C: D1D303B4 06D21308
	v_max3_f32 v180, |v10|, |v11|, v180                        // 00000000F3A4: D1D303B4 06D2170A
	v_max3_f32 v180, |v12|, |v13|, v180                        // 00000000F3AC: D1D303B4 06D21B0C
	v_max3_f32 v180, |v14|, |v15|, v180                        // 00000000F3B4: D1D303B4 06D21F0E
	v_max3_f32 v180, |v16|, |v17|, v180                        // 00000000F3BC: D1D303B4 06D22310
	v_max3_f32 v180, |v18|, |v19|, v180                        // 00000000F3C4: D1D303B4 06D22712
	v_rcp_f32_e32 v180, v180                                   // 00000000F3CC: 7F6845B4
	v_mov_b32_e32 v4, 0x43700000                               // 00000000F3D0: 7E0802FF 43700000
	v_mul_f32_e32 v180, v4, v180                               // 00000000F3D8: 0B696904
	v_mov_b32_e32 v4, v180                                     // 00000000F3DC: 7E0803B4
	v_mov_b32_e32 v5, v4                                       // 00000000F3E0: 7E0A0304
	v_pk_mul_f32 v[124:125], v[4:5], v[124:125]                // 00000000F3E4: D3B1407C 1802F904
	v_pk_mul_f32 v[126:127], v[4:5], v[126:127]                // 00000000F3EC: D3B1407E 1802FD04
	v_cvt_pk_fp8_f32 v124, v124, v125                          // 00000000F3F4: D2A2007C 0002FB7C
	v_cvt_pk_fp8_f32 v124, v126, v127 op_sel:[0,0,1]           // 00000000F3FC: D2A2407C 0002FF7E
	v_pk_mul_f32 v[164:165], v[4:5], v[164:165]                // 00000000F404: D3B140A4 18034904
	v_pk_mul_f32 v[166:167], v[4:5], v[166:167]                // 00000000F40C: D3B140A6 18034D04
	v_cvt_pk_fp8_f32 v164, v164, v165                          // 00000000F414: D2A200A4 00034BA4
	v_cvt_pk_fp8_f32 v164, v166, v167 op_sel:[0,0,1]           // 00000000F41C: D2A240A4 00034FA6
	v_rcp_f32_e32 v180, v180                                   // 00000000F424: 7F6845B4
	v_mov_b32_e32 v181, 0x358637bd                             // 00000000F428: 7F6A02FF 358637BD
	v_max3_f32 v181, |v128|, |v129|, v181                      // 00000000F430: D1D303B5 06D70380
	v_max3_f32 v181, |v130|, |v131|, v181                      // 00000000F438: D1D303B5 06D70782
	v_max3_f32 v181, |v168|, |v169|, v181                      // 00000000F440: D1D303B5 06D753A8
	v_max3_f32 v181, |v170|, |v171|, v181                      // 00000000F448: D1D303B5 06D757AA
	ds_write_b32 v182, v181                                    // 00000000F450: D81A0000 0000B5B6
	s_waitcnt lgkmcnt(0)                                       // 00000000F458: BF8CC07F
	s_barrier                                                  // 00000000F45C: BF8A0000
	ds_read_b32 v4, v183                                       // 00000000F460: D86C0000 040000B7
	ds_read_b32 v5, v183 offset:64                             // 00000000F468: D86C0040 050000B7
	ds_read_b32 v6, v183 offset:128                            // 00000000F470: D86C0080 060000B7
	ds_read_b32 v7, v183 offset:192                            // 00000000F478: D86C00C0 070000B7
	ds_read_b32 v8, v183 offset:256                            // 00000000F480: D86C0100 080000B7
	ds_read_b32 v9, v183 offset:320                            // 00000000F488: D86C0140 090000B7
	ds_read_b32 v10, v183 offset:384                           // 00000000F490: D86C0180 0A0000B7
	ds_read_b32 v11, v183 offset:448                           // 00000000F498: D86C01C0 0B0000B7
	ds_read_b32 v12, v183 offset:512                           // 00000000F4A0: D86C0200 0C0000B7
	ds_read_b32 v13, v183 offset:576                           // 00000000F4A8: D86C0240 0D0000B7
	ds_read_b32 v14, v183 offset:640                           // 00000000F4B0: D86C0280 0E0000B7
	ds_read_b32 v15, v183 offset:704                           // 00000000F4B8: D86C02C0 0F0000B7
	ds_read_b32 v16, v183 offset:768                           // 00000000F4C0: D86C0300 100000B7
	ds_read_b32 v17, v183 offset:832                           // 00000000F4C8: D86C0340 110000B7
	ds_read_b32 v18, v183 offset:896                           // 00000000F4D0: D86C0380 120000B7
	ds_read_b32 v19, v183 offset:960                           // 00000000F4D8: D86C03C0 130000B7
	s_waitcnt lgkmcnt(0)                                       // 00000000F4E0: BF8CC07F
	s_barrier                                                  // 00000000F4E4: BF8A0000
	v_max3_f32 v181, |v4|, |v5|, v181                          // 00000000F4E8: D1D303B5 06D60B04
	v_max3_f32 v181, |v6|, |v7|, v181                          // 00000000F4F0: D1D303B5 06D60F06
	v_max3_f32 v181, |v8|, |v9|, v181                          // 00000000F4F8: D1D303B5 06D61308
	v_max3_f32 v181, |v10|, |v11|, v181                        // 00000000F500: D1D303B5 06D6170A
	v_max3_f32 v181, |v12|, |v13|, v181                        // 00000000F508: D1D303B5 06D61B0C
	v_max3_f32 v181, |v14|, |v15|, v181                        // 00000000F510: D1D303B5 06D61F0E
	v_max3_f32 v181, |v16|, |v17|, v181                        // 00000000F518: D1D303B5 06D62310
	v_max3_f32 v181, |v18|, |v19|, v181                        // 00000000F520: D1D303B5 06D62712
	v_rcp_f32_e32 v181, v181                                   // 00000000F528: 7F6A45B5
	v_mov_b32_e32 v4, 0x43700000                               // 00000000F52C: 7E0802FF 43700000
	v_mul_f32_e32 v181, v4, v181                               // 00000000F534: 0B6B6B04
	v_mov_b32_e32 v4, v181                                     // 00000000F538: 7E0803B5
	v_mov_b32_e32 v5, v4                                       // 00000000F53C: 7E0A0304
	v_pk_mul_f32 v[128:129], v[4:5], v[128:129]                // 00000000F540: D3B14080 18030104
	v_pk_mul_f32 v[130:131], v[4:5], v[130:131]                // 00000000F548: D3B14082 18030504
	v_cvt_pk_fp8_f32 v128, v128, v129                          // 00000000F550: D2A20080 00030380
	v_cvt_pk_fp8_f32 v128, v130, v131 op_sel:[0,0,1]           // 00000000F558: D2A24080 00030782
	v_pk_mul_f32 v[168:169], v[4:5], v[168:169]                // 00000000F560: D3B140A8 18035104
	v_pk_mul_f32 v[170:171], v[4:5], v[170:171]                // 00000000F568: D3B140AA 18035504
	v_cvt_pk_fp8_f32 v168, v168, v169                          // 00000000F570: D2A200A8 000353A8
	v_cvt_pk_fp8_f32 v168, v170, v171 op_sel:[0,0,1]           // 00000000F578: D2A240A8 000357AA
	v_rcp_f32_e32 v181, v181                                   // 00000000F580: 7F6A45B5
	v_lshrrev_b32_e32 v4, 5, v0                                // 00000000F584: 20080085
	v_mul_lo_u32 v20, 34, v4                                   // 00000000F588: D2850014 000208A2
	v_and_b32_e32 v4, 31, v0                                   // 00000000F590: 2608009F
	v_lshrrev_b32_e32 v5, 4, v4                                // 00000000F594: 200A0884
	v_add_u32_e32 v20, v5, v20                                 // 00000000F598: 68282905
	v_and_b32_e32 v4, 15, v0                                   // 00000000F59C: 2608008F
	v_mul_lo_u32 v5, 2, v4                                     // 00000000F5A0: D2850005 00020882
	v_add_u32_e32 v20, v5, v20                                 // 00000000F5A8: 68282905
	s_mul_i32 s60, s7, 0x44                                    // 00000000F5AC: 923CFF07 00000044
	v_add_u32_e32 v20, s60, v20                                // 00000000F5B4: 6828283C
	v_lshlrev_b32_e32 v20, 2, v20                              // 00000000F5B8: 24282882
	ds_write_b32 v20, v92                                      // 00000000F5BC: D81A0000 00005C14
	ds_write_b32 v20, v96 offset:2176                          // 00000000F5C4: D81A0880 00006014
	ds_write_b32 v20, v100 offset:4352                         // 00000000F5CC: D81A1100 00006414
	ds_write_b32 v20, v104 offset:6528                         // 00000000F5D4: D81A1980 00006814
	ds_write_b32 v20, v108 offset:8704                         // 00000000F5DC: D81A2200 00006C14
	ds_write_b32 v20, v112 offset:10880                        // 00000000F5E4: D81A2A80 00007014
	ds_write_b32 v20, v116 offset:13056                        // 00000000F5EC: D81A3300 00007414
	ds_write_b32 v20, v120 offset:15232                        // 00000000F5F4: D81A3B80 00007814
	ds_write_b32 v20, v124 offset:17408                        // 00000000F5FC: D81A4400 00007C14
	ds_write_b32 v20, v128 offset:19584                        // 00000000F604: D81A4C80 00008014
	ds_write_b32 v20, v132 offset:1088                         // 00000000F60C: D81A0440 00008414
	ds_write_b32 v20, v136 offset:3264                         // 00000000F614: D81A0CC0 00008814
	ds_write_b32 v20, v140 offset:5440                         // 00000000F61C: D81A1540 00008C14
	ds_write_b32 v20, v144 offset:7616                         // 00000000F624: D81A1DC0 00009014
	ds_write_b32 v20, v148 offset:9792                         // 00000000F62C: D81A2640 00009414
	ds_write_b32 v20, v152 offset:11968                        // 00000000F634: D81A2EC0 00009814
	ds_write_b32 v20, v156 offset:14144                        // 00000000F63C: D81A3740 00009C14
	ds_write_b32 v20, v160 offset:16320                        // 00000000F644: D81A3FC0 0000A014
	ds_write_b32 v20, v164 offset:18496                        // 00000000F64C: D81A4840 0000A414
	ds_write_b32 v20, v168 offset:20672                        // 00000000F654: D81A50C0 0000A814
	v_lshrrev_b32_e32 v4, 5, v0                                // 00000000F65C: 20080085
	v_xor_b32_e32 v5, 1, v4                                    // 00000000F660: 2A0A0881
	s_mul_i32 s60, s65, 1                                      // 00000000F664: 923C8141
	s_cmp_eq_u32 s88, 0                                        // 00000000F668: BF068058
	s_cselect_b32 s61, 1, 8                                    // 00000000F66C: 853D8881
	s_mul_i32 s60, s61, s60                                    // 00000000F670: 923C3C3D
	v_readlane_b32 s82, v3, 0                                  // 00000000F674: D2890052 00010103
	s_lshr_b32 s61, s82, 24                                    // 00000000F67C: 8F3D9852
	s_and_b32 s82, s82, 0xffffff                               // 00000000F680: 8652FF52 00FFFFFF
	s_mul_i32 s82, s82, s71                                    // 00000000F688: 92524752
	s_mul_i32 s61, s60, s61                                    // 00000000F68C: 923D3D3C
	s_add_u32 s82, s82, s61                                    // 00000000F690: 80523D52
	v_mul_lo_u32 v6, v5, s82                                   // 00000000F694: D2850006 0000A505
	v_readlane_b32 s82, v3, 1                                  // 00000000F69C: D2890052 00010303
	s_lshr_b32 s61, s82, 24                                    // 00000000F6A4: 8F3D9852
	s_and_b32 s82, s82, 0xffffff                               // 00000000F6A8: 8652FF52 00FFFFFF
	s_mul_i32 s82, s82, s71                                    // 00000000F6B0: 92524752
	s_mul_i32 s61, s60, s61                                    // 00000000F6B4: 923D3D3C
	s_add_u32 s82, s82, s61                                    // 00000000F6B8: 80523D52
	v_mul_lo_u32 v7, v4, s82                                   // 00000000F6BC: D2850007 0000A504
	v_add_u32_e32 v68, v6, v7                                  // 00000000F6C4: 68880F06
	v_readlane_b32 s82, v3, 2                                  // 00000000F6C8: D2890052 00010503
	s_lshr_b32 s61, s82, 24                                    // 00000000F6D0: 8F3D9852
	s_and_b32 s82, s82, 0xffffff                               // 00000000F6D4: 8652FF52 00FFFFFF
	s_mul_i32 s82, s82, s71                                    // 00000000F6DC: 92524752
	s_mul_i32 s61, s60, s61                                    // 00000000F6E0: 923D3D3C
	s_add_u32 s82, s82, s61                                    // 00000000F6E4: 80523D52
	v_mul_lo_u32 v6, v5, s82                                   // 00000000F6E8: D2850006 0000A505
	v_readlane_b32 s82, v3, 3                                  // 00000000F6F0: D2890052 00010703
	s_lshr_b32 s61, s82, 24                                    // 00000000F6F8: 8F3D9852
	s_and_b32 s82, s82, 0xffffff                               // 00000000F6FC: 8652FF52 00FFFFFF
	s_mul_i32 s82, s82, s71                                    // 00000000F704: 92524752
	s_mul_i32 s61, s60, s61                                    // 00000000F708: 923D3D3C
	s_add_u32 s82, s82, s61                                    // 00000000F70C: 80523D52
	v_mul_lo_u32 v7, v4, s82                                   // 00000000F710: D2850007 0000A504
	v_add_u32_e32 v69, v6, v7                                  // 00000000F718: 688A0F06
	v_readlane_b32 s82, v3, 4                                  // 00000000F71C: D2890052 00010903
	s_lshr_b32 s61, s82, 24                                    // 00000000F724: 8F3D9852
	s_and_b32 s82, s82, 0xffffff                               // 00000000F728: 8652FF52 00FFFFFF
	s_mul_i32 s82, s82, s71                                    // 00000000F730: 92524752
	s_mul_i32 s61, s60, s61                                    // 00000000F734: 923D3D3C
	s_add_u32 s82, s82, s61                                    // 00000000F738: 80523D52
	v_mul_lo_u32 v6, v5, s82                                   // 00000000F73C: D2850006 0000A505
	v_readlane_b32 s82, v3, 5                                  // 00000000F744: D2890052 00010B03
	s_lshr_b32 s61, s82, 24                                    // 00000000F74C: 8F3D9852
	s_and_b32 s82, s82, 0xffffff                               // 00000000F750: 8652FF52 00FFFFFF
	s_mul_i32 s82, s82, s71                                    // 00000000F758: 92524752
	s_mul_i32 s61, s60, s61                                    // 00000000F75C: 923D3D3C
	s_add_u32 s82, s82, s61                                    // 00000000F760: 80523D52
	v_mul_lo_u32 v7, v4, s82                                   // 00000000F764: D2850007 0000A504
	v_add_u32_e32 v70, v6, v7                                  // 00000000F76C: 688C0F06
	v_readlane_b32 s82, v3, 6                                  // 00000000F770: D2890052 00010D03
	s_lshr_b32 s61, s82, 24                                    // 00000000F778: 8F3D9852
	s_and_b32 s82, s82, 0xffffff                               // 00000000F77C: 8652FF52 00FFFFFF
	s_mul_i32 s82, s82, s71                                    // 00000000F784: 92524752
	s_mul_i32 s61, s60, s61                                    // 00000000F788: 923D3D3C
	s_add_u32 s82, s82, s61                                    // 00000000F78C: 80523D52
	v_mul_lo_u32 v6, v5, s82                                   // 00000000F790: D2850006 0000A505
	v_readlane_b32 s82, v3, 7                                  // 00000000F798: D2890052 00010F03
	s_lshr_b32 s61, s82, 24                                    // 00000000F7A0: 8F3D9852
	s_and_b32 s82, s82, 0xffffff                               // 00000000F7A4: 8652FF52 00FFFFFF
	s_mul_i32 s82, s82, s71                                    // 00000000F7AC: 92524752
	s_mul_i32 s61, s60, s61                                    // 00000000F7B0: 923D3D3C
	s_add_u32 s82, s82, s61                                    // 00000000F7B4: 80523D52
	v_mul_lo_u32 v7, v4, s82                                   // 00000000F7B8: D2850007 0000A504
	v_add_u32_e32 v71, v6, v7                                  // 00000000F7C0: 688E0F06
	v_readlane_b32 s82, v3, 8                                  // 00000000F7C4: D2890052 00011103
	s_lshr_b32 s61, s82, 24                                    // 00000000F7CC: 8F3D9852
	s_and_b32 s82, s82, 0xffffff                               // 00000000F7D0: 8652FF52 00FFFFFF
	s_mul_i32 s82, s82, s71                                    // 00000000F7D8: 92524752
	s_mul_i32 s61, s60, s61                                    // 00000000F7DC: 923D3D3C
	s_add_u32 s82, s82, s61                                    // 00000000F7E0: 80523D52
	v_mul_lo_u32 v6, v5, s82                                   // 00000000F7E4: D2850006 0000A505
	v_readlane_b32 s82, v3, 9                                  // 00000000F7EC: D2890052 00011303
	s_lshr_b32 s61, s82, 24                                    // 00000000F7F4: 8F3D9852
	s_and_b32 s82, s82, 0xffffff                               // 00000000F7F8: 8652FF52 00FFFFFF
	s_mul_i32 s82, s82, s71                                    // 00000000F800: 92524752
	s_mul_i32 s61, s60, s61                                    // 00000000F804: 923D3D3C
	s_add_u32 s82, s82, s61                                    // 00000000F808: 80523D52
	v_mul_lo_u32 v7, v4, s82                                   // 00000000F80C: D2850007 0000A504
	v_add_u32_e32 v72, v6, v7                                  // 00000000F814: 68900F06
	v_readlane_b32 s82, v3, 10                                 // 00000000F818: D2890052 00011503
	s_lshr_b32 s61, s82, 24                                    // 00000000F820: 8F3D9852
	s_and_b32 s82, s82, 0xffffff                               // 00000000F824: 8652FF52 00FFFFFF
	s_mul_i32 s82, s82, s71                                    // 00000000F82C: 92524752
	s_mul_i32 s61, s60, s61                                    // 00000000F830: 923D3D3C
	s_add_u32 s82, s82, s61                                    // 00000000F834: 80523D52
	v_mul_lo_u32 v6, v5, s82                                   // 00000000F838: D2850006 0000A505
	v_readlane_b32 s82, v3, 11                                 // 00000000F840: D2890052 00011703
	s_lshr_b32 s61, s82, 24                                    // 00000000F848: 8F3D9852
	s_and_b32 s82, s82, 0xffffff                               // 00000000F84C: 8652FF52 00FFFFFF
	s_mul_i32 s82, s82, s71                                    // 00000000F854: 92524752
	s_mul_i32 s61, s60, s61                                    // 00000000F858: 923D3D3C
	s_add_u32 s82, s82, s61                                    // 00000000F85C: 80523D52
	v_mul_lo_u32 v7, v4, s82                                   // 00000000F860: D2850007 0000A504
	v_add_u32_e32 v73, v6, v7                                  // 00000000F868: 68920F06
	v_readlane_b32 s82, v3, 12                                 // 00000000F86C: D2890052 00011903
	s_lshr_b32 s61, s82, 24                                    // 00000000F874: 8F3D9852
	s_and_b32 s82, s82, 0xffffff                               // 00000000F878: 8652FF52 00FFFFFF
	s_mul_i32 s82, s82, s71                                    // 00000000F880: 92524752
	s_mul_i32 s61, s60, s61                                    // 00000000F884: 923D3D3C
	s_add_u32 s82, s82, s61                                    // 00000000F888: 80523D52
	v_mul_lo_u32 v6, v5, s82                                   // 00000000F88C: D2850006 0000A505
	v_readlane_b32 s82, v3, 13                                 // 00000000F894: D2890052 00011B03
	s_lshr_b32 s61, s82, 24                                    // 00000000F89C: 8F3D9852
	s_and_b32 s82, s82, 0xffffff                               // 00000000F8A0: 8652FF52 00FFFFFF
	s_mul_i32 s82, s82, s71                                    // 00000000F8A8: 92524752
	s_mul_i32 s61, s60, s61                                    // 00000000F8AC: 923D3D3C
	s_add_u32 s82, s82, s61                                    // 00000000F8B0: 80523D52
	v_mul_lo_u32 v7, v4, s82                                   // 00000000F8B4: D2850007 0000A504
	v_add_u32_e32 v74, v6, v7                                  // 00000000F8BC: 68940F06
	v_readlane_b32 s82, v3, 14                                 // 00000000F8C0: D2890052 00011D03
	s_lshr_b32 s61, s82, 24                                    // 00000000F8C8: 8F3D9852
	s_and_b32 s82, s82, 0xffffff                               // 00000000F8CC: 8652FF52 00FFFFFF
	s_mul_i32 s82, s82, s71                                    // 00000000F8D4: 92524752
	s_mul_i32 s61, s60, s61                                    // 00000000F8D8: 923D3D3C
	s_add_u32 s82, s82, s61                                    // 00000000F8DC: 80523D52
	v_mul_lo_u32 v6, v5, s82                                   // 00000000F8E0: D2850006 0000A505
	v_readlane_b32 s82, v3, 15                                 // 00000000F8E8: D2890052 00011F03
	s_lshr_b32 s61, s82, 24                                    // 00000000F8F0: 8F3D9852
	s_and_b32 s82, s82, 0xffffff                               // 00000000F8F4: 8652FF52 00FFFFFF
	s_mul_i32 s82, s82, s71                                    // 00000000F8FC: 92524752
	s_mul_i32 s61, s60, s61                                    // 00000000F900: 923D3D3C
	s_add_u32 s82, s82, s61                                    // 00000000F904: 80523D52
	v_mul_lo_u32 v7, v4, s82                                   // 00000000F908: D2850007 0000A504
	v_add_u32_e32 v75, v6, v7                                  // 00000000F910: 68960F06
	v_readlane_b32 s82, v3, 16                                 // 00000000F914: D2890052 00012103
	s_lshr_b32 s61, s82, 24                                    // 00000000F91C: 8F3D9852
	s_and_b32 s82, s82, 0xffffff                               // 00000000F920: 8652FF52 00FFFFFF
	s_mul_i32 s82, s82, s71                                    // 00000000F928: 92524752
	s_mul_i32 s61, s60, s61                                    // 00000000F92C: 923D3D3C
	s_add_u32 s82, s82, s61                                    // 00000000F930: 80523D52
	v_mul_lo_u32 v6, v5, s82                                   // 00000000F934: D2850006 0000A505
	v_readlane_b32 s82, v3, 17                                 // 00000000F93C: D2890052 00012303
	s_lshr_b32 s61, s82, 24                                    // 00000000F944: 8F3D9852
	s_and_b32 s82, s82, 0xffffff                               // 00000000F948: 8652FF52 00FFFFFF
	s_mul_i32 s82, s82, s71                                    // 00000000F950: 92524752
	s_mul_i32 s61, s60, s61                                    // 00000000F954: 923D3D3C
	s_add_u32 s82, s82, s61                                    // 00000000F958: 80523D52
	v_mul_lo_u32 v7, v4, s82                                   // 00000000F95C: D2850007 0000A504
	v_add_u32_e32 v76, v6, v7                                  // 00000000F964: 68980F06
	v_readlane_b32 s82, v3, 18                                 // 00000000F968: D2890052 00012503
	s_lshr_b32 s61, s82, 24                                    // 00000000F970: 8F3D9852
	s_and_b32 s82, s82, 0xffffff                               // 00000000F974: 8652FF52 00FFFFFF
	s_mul_i32 s82, s82, s71                                    // 00000000F97C: 92524752
	s_mul_i32 s61, s60, s61                                    // 00000000F980: 923D3D3C
	s_add_u32 s82, s82, s61                                    // 00000000F984: 80523D52
	v_mul_lo_u32 v6, v5, s82                                   // 00000000F988: D2850006 0000A505
	v_readlane_b32 s82, v3, 19                                 // 00000000F990: D2890052 00012703
	s_lshr_b32 s61, s82, 24                                    // 00000000F998: 8F3D9852
	s_and_b32 s82, s82, 0xffffff                               // 00000000F99C: 8652FF52 00FFFFFF
	s_mul_i32 s82, s82, s71                                    // 00000000F9A4: 92524752
	s_mul_i32 s61, s60, s61                                    // 00000000F9A8: 923D3D3C
	s_add_u32 s82, s82, s61                                    // 00000000F9AC: 80523D52
	v_mul_lo_u32 v7, v4, s82                                   // 00000000F9B0: D2850007 0000A504
	v_add_u32_e32 v77, v6, v7                                  // 00000000F9B8: 689A0F06
	v_readlane_b32 s82, v3, 20                                 // 00000000F9BC: D2890052 00012903
	s_lshr_b32 s61, s82, 24                                    // 00000000F9C4: 8F3D9852
	s_and_b32 s82, s82, 0xffffff                               // 00000000F9C8: 8652FF52 00FFFFFF
	s_mul_i32 s82, s82, s71                                    // 00000000F9D0: 92524752
	s_mul_i32 s61, s60, s61                                    // 00000000F9D4: 923D3D3C
	s_add_u32 s82, s82, s61                                    // 00000000F9D8: 80523D52
	v_mul_lo_u32 v6, v5, s82                                   // 00000000F9DC: D2850006 0000A505
	v_readlane_b32 s82, v3, 21                                 // 00000000F9E4: D2890052 00012B03
	s_lshr_b32 s61, s82, 24                                    // 00000000F9EC: 8F3D9852
	s_and_b32 s82, s82, 0xffffff                               // 00000000F9F0: 8652FF52 00FFFFFF
	s_mul_i32 s82, s82, s71                                    // 00000000F9F8: 92524752
	s_mul_i32 s61, s60, s61                                    // 00000000F9FC: 923D3D3C
	s_add_u32 s82, s82, s61                                    // 00000000FA00: 80523D52
	v_mul_lo_u32 v7, v4, s82                                   // 00000000FA04: D2850007 0000A504
	v_add_u32_e32 v78, v6, v7                                  // 00000000FA0C: 689C0F06
	v_readlane_b32 s82, v3, 22                                 // 00000000FA10: D2890052 00012D03
	s_lshr_b32 s61, s82, 24                                    // 00000000FA18: 8F3D9852
	s_and_b32 s82, s82, 0xffffff                               // 00000000FA1C: 8652FF52 00FFFFFF
	s_mul_i32 s82, s82, s71                                    // 00000000FA24: 92524752
	s_mul_i32 s61, s60, s61                                    // 00000000FA28: 923D3D3C
	s_add_u32 s82, s82, s61                                    // 00000000FA2C: 80523D52
	v_mul_lo_u32 v6, v5, s82                                   // 00000000FA30: D2850006 0000A505
	v_readlane_b32 s82, v3, 23                                 // 00000000FA38: D2890052 00012F03
	s_lshr_b32 s61, s82, 24                                    // 00000000FA40: 8F3D9852
	s_and_b32 s82, s82, 0xffffff                               // 00000000FA44: 8652FF52 00FFFFFF
	s_mul_i32 s82, s82, s71                                    // 00000000FA4C: 92524752
	s_mul_i32 s61, s60, s61                                    // 00000000FA50: 923D3D3C
	s_add_u32 s82, s82, s61                                    // 00000000FA54: 80523D52
	v_mul_lo_u32 v7, v4, s82                                   // 00000000FA58: D2850007 0000A504
	v_add_u32_e32 v79, v6, v7                                  // 00000000FA60: 689E0F06
	v_readlane_b32 s82, v3, 24                                 // 00000000FA64: D2890052 00013103
	s_lshr_b32 s61, s82, 24                                    // 00000000FA6C: 8F3D9852
	s_and_b32 s82, s82, 0xffffff                               // 00000000FA70: 8652FF52 00FFFFFF
	s_mul_i32 s82, s82, s71                                    // 00000000FA78: 92524752
	s_mul_i32 s61, s60, s61                                    // 00000000FA7C: 923D3D3C
	s_add_u32 s82, s82, s61                                    // 00000000FA80: 80523D52
	v_mul_lo_u32 v6, v5, s82                                   // 00000000FA84: D2850006 0000A505
	v_readlane_b32 s82, v3, 25                                 // 00000000FA8C: D2890052 00013303
	s_lshr_b32 s61, s82, 24                                    // 00000000FA94: 8F3D9852
	s_and_b32 s82, s82, 0xffffff                               // 00000000FA98: 8652FF52 00FFFFFF
	s_mul_i32 s82, s82, s71                                    // 00000000FAA0: 92524752
	s_mul_i32 s61, s60, s61                                    // 00000000FAA4: 923D3D3C
	s_add_u32 s82, s82, s61                                    // 00000000FAA8: 80523D52
	v_mul_lo_u32 v7, v4, s82                                   // 00000000FAAC: D2850007 0000A504
	v_add_u32_e32 v80, v6, v7                                  // 00000000FAB4: 68A00F06
	v_readlane_b32 s82, v3, 26                                 // 00000000FAB8: D2890052 00013503
	s_lshr_b32 s61, s82, 24                                    // 00000000FAC0: 8F3D9852
	s_and_b32 s82, s82, 0xffffff                               // 00000000FAC4: 8652FF52 00FFFFFF
	s_mul_i32 s82, s82, s71                                    // 00000000FACC: 92524752
	s_mul_i32 s61, s60, s61                                    // 00000000FAD0: 923D3D3C
	s_add_u32 s82, s82, s61                                    // 00000000FAD4: 80523D52
	v_mul_lo_u32 v6, v5, s82                                   // 00000000FAD8: D2850006 0000A505
	v_readlane_b32 s82, v3, 27                                 // 00000000FAE0: D2890052 00013703
	s_lshr_b32 s61, s82, 24                                    // 00000000FAE8: 8F3D9852
	s_and_b32 s82, s82, 0xffffff                               // 00000000FAEC: 8652FF52 00FFFFFF
	s_mul_i32 s82, s82, s71                                    // 00000000FAF4: 92524752
	s_mul_i32 s61, s60, s61                                    // 00000000FAF8: 923D3D3C
	s_add_u32 s82, s82, s61                                    // 00000000FAFC: 80523D52
	v_mul_lo_u32 v7, v4, s82                                   // 00000000FB00: D2850007 0000A504
	v_add_u32_e32 v81, v6, v7                                  // 00000000FB08: 68A20F06
	v_readlane_b32 s82, v3, 28                                 // 00000000FB0C: D2890052 00013903
	s_lshr_b32 s61, s82, 24                                    // 00000000FB14: 8F3D9852
	s_and_b32 s82, s82, 0xffffff                               // 00000000FB18: 8652FF52 00FFFFFF
	s_mul_i32 s82, s82, s71                                    // 00000000FB20: 92524752
	s_mul_i32 s61, s60, s61                                    // 00000000FB24: 923D3D3C
	s_add_u32 s82, s82, s61                                    // 00000000FB28: 80523D52
	v_mul_lo_u32 v6, v5, s82                                   // 00000000FB2C: D2850006 0000A505
	v_readlane_b32 s82, v3, 29                                 // 00000000FB34: D2890052 00013B03
	s_lshr_b32 s61, s82, 24                                    // 00000000FB3C: 8F3D9852
	s_and_b32 s82, s82, 0xffffff                               // 00000000FB40: 8652FF52 00FFFFFF
	s_mul_i32 s82, s82, s71                                    // 00000000FB48: 92524752
	s_mul_i32 s61, s60, s61                                    // 00000000FB4C: 923D3D3C
	s_add_u32 s82, s82, s61                                    // 00000000FB50: 80523D52
	v_mul_lo_u32 v7, v4, s82                                   // 00000000FB54: D2850007 0000A504
	v_add_u32_e32 v82, v6, v7                                  // 00000000FB5C: 68A40F06
	v_readlane_b32 s82, v3, 30                                 // 00000000FB60: D2890052 00013D03
	s_lshr_b32 s61, s82, 24                                    // 00000000FB68: 8F3D9852
	s_and_b32 s82, s82, 0xffffff                               // 00000000FB6C: 8652FF52 00FFFFFF
	s_mul_i32 s82, s82, s71                                    // 00000000FB74: 92524752
	s_mul_i32 s61, s60, s61                                    // 00000000FB78: 923D3D3C
	s_add_u32 s82, s82, s61                                    // 00000000FB7C: 80523D52
	v_mul_lo_u32 v6, v5, s82                                   // 00000000FB80: D2850006 0000A505
	v_readlane_b32 s82, v3, 31                                 // 00000000FB88: D2890052 00013F03
	s_lshr_b32 s61, s82, 24                                    // 00000000FB90: 8F3D9852
	s_and_b32 s82, s82, 0xffffff                               // 00000000FB94: 8652FF52 00FFFFFF
	s_mul_i32 s82, s82, s71                                    // 00000000FB9C: 92524752
	s_mul_i32 s61, s60, s61                                    // 00000000FBA0: 923D3D3C
	s_add_u32 s82, s82, s61                                    // 00000000FBA4: 80523D52
	v_mul_lo_u32 v7, v4, s82                                   // 00000000FBA8: D2850007 0000A504
	v_add_u32_e32 v83, v6, v7                                  // 00000000FBB0: 68A60F06
	v_readlane_b32 s82, v3, 32                                 // 00000000FBB4: D2890052 00014103
	s_lshr_b32 s61, s82, 24                                    // 00000000FBBC: 8F3D9852
	s_and_b32 s82, s82, 0xffffff                               // 00000000FBC0: 8652FF52 00FFFFFF
	s_mul_i32 s82, s82, s71                                    // 00000000FBC8: 92524752
	s_mul_i32 s61, s60, s61                                    // 00000000FBCC: 923D3D3C
	s_add_u32 s82, s82, s61                                    // 00000000FBD0: 80523D52
	v_mul_lo_u32 v6, v5, s82                                   // 00000000FBD4: D2850006 0000A505
	v_readlane_b32 s82, v3, 33                                 // 00000000FBDC: D2890052 00014303
	s_lshr_b32 s61, s82, 24                                    // 00000000FBE4: 8F3D9852
	s_and_b32 s82, s82, 0xffffff                               // 00000000FBE8: 8652FF52 00FFFFFF
	s_mul_i32 s82, s82, s71                                    // 00000000FBF0: 92524752
	s_mul_i32 s61, s60, s61                                    // 00000000FBF4: 923D3D3C
	s_add_u32 s82, s82, s61                                    // 00000000FBF8: 80523D52
	v_mul_lo_u32 v7, v4, s82                                   // 00000000FBFC: D2850007 0000A504
	v_add_u32_e32 v84, v6, v7                                  // 00000000FC04: 68A80F06
	v_readlane_b32 s82, v3, 34                                 // 00000000FC08: D2890052 00014503
	s_lshr_b32 s61, s82, 24                                    // 00000000FC10: 8F3D9852
	s_and_b32 s82, s82, 0xffffff                               // 00000000FC14: 8652FF52 00FFFFFF
	s_mul_i32 s82, s82, s71                                    // 00000000FC1C: 92524752
	s_mul_i32 s61, s60, s61                                    // 00000000FC20: 923D3D3C
	s_add_u32 s82, s82, s61                                    // 00000000FC24: 80523D52
	v_mul_lo_u32 v6, v5, s82                                   // 00000000FC28: D2850006 0000A505
	v_readlane_b32 s82, v3, 35                                 // 00000000FC30: D2890052 00014703
	s_lshr_b32 s61, s82, 24                                    // 00000000FC38: 8F3D9852
	s_and_b32 s82, s82, 0xffffff                               // 00000000FC3C: 8652FF52 00FFFFFF
	s_mul_i32 s82, s82, s71                                    // 00000000FC44: 92524752
	s_mul_i32 s61, s60, s61                                    // 00000000FC48: 923D3D3C
	s_add_u32 s82, s82, s61                                    // 00000000FC4C: 80523D52
	v_mul_lo_u32 v7, v4, s82                                   // 00000000FC50: D2850007 0000A504
	v_add_u32_e32 v85, v6, v7                                  // 00000000FC58: 68AA0F06
	v_readlane_b32 s82, v3, 36                                 // 00000000FC5C: D2890052 00014903
	s_lshr_b32 s61, s82, 24                                    // 00000000FC64: 8F3D9852
	s_and_b32 s82, s82, 0xffffff                               // 00000000FC68: 8652FF52 00FFFFFF
	s_mul_i32 s82, s82, s71                                    // 00000000FC70: 92524752
	s_mul_i32 s61, s60, s61                                    // 00000000FC74: 923D3D3C
	s_add_u32 s82, s82, s61                                    // 00000000FC78: 80523D52
	v_mul_lo_u32 v6, v5, s82                                   // 00000000FC7C: D2850006 0000A505
	v_readlane_b32 s82, v3, 37                                 // 00000000FC84: D2890052 00014B03
	s_lshr_b32 s61, s82, 24                                    // 00000000FC8C: 8F3D9852
	s_and_b32 s82, s82, 0xffffff                               // 00000000FC90: 8652FF52 00FFFFFF
	s_mul_i32 s82, s82, s71                                    // 00000000FC98: 92524752
	s_mul_i32 s61, s60, s61                                    // 00000000FC9C: 923D3D3C
	s_add_u32 s82, s82, s61                                    // 00000000FCA0: 80523D52
	v_mul_lo_u32 v7, v4, s82                                   // 00000000FCA4: D2850007 0000A504
	v_add_u32_e32 v86, v6, v7                                  // 00000000FCAC: 68AC0F06
	v_readlane_b32 s82, v3, 38                                 // 00000000FCB0: D2890052 00014D03
	s_lshr_b32 s61, s82, 24                                    // 00000000FCB8: 8F3D9852
	s_and_b32 s82, s82, 0xffffff                               // 00000000FCBC: 8652FF52 00FFFFFF
	s_mul_i32 s82, s82, s71                                    // 00000000FCC4: 92524752
	s_mul_i32 s61, s60, s61                                    // 00000000FCC8: 923D3D3C
	s_add_u32 s82, s82, s61                                    // 00000000FCCC: 80523D52
	v_mul_lo_u32 v6, v5, s82                                   // 00000000FCD0: D2850006 0000A505
	v_readlane_b32 s82, v3, 39                                 // 00000000FCD8: D2890052 00014F03
	s_lshr_b32 s61, s82, 24                                    // 00000000FCE0: 8F3D9852
	s_and_b32 s82, s82, 0xffffff                               // 00000000FCE4: 8652FF52 00FFFFFF
	s_mul_i32 s82, s82, s71                                    // 00000000FCEC: 92524752
	s_mul_i32 s61, s60, s61                                    // 00000000FCF0: 923D3D3C
	s_add_u32 s82, s82, s61                                    // 00000000FCF4: 80523D52
	v_mul_lo_u32 v7, v4, s82                                   // 00000000FCF8: D2850007 0000A504
	v_add_u32_e32 v87, v6, v7                                  // 00000000FD00: 68AE0F06
	v_and_b32_e32 v4, 31, v0                                   // 00000000FD04: 2608009F
	v_lshrrev_b32_e32 v4, 1, v4                                // 00000000FD08: 20080881
	s_cmp_eq_u32 s88, 0                                        // 00000000FD0C: BF068058
	s_cselect_b32 s61, 2, 4                                    // 00000000FD10: 853D8482
	v_mul_lo_u32 v4, v4, s61                                   // 00000000FD14: D2850004 00007B04
	v_and_b32_e64 v5, v0, 1                                    // 00000000FD1C: D1130005 00010300
	v_add_u32_e32 v4, v4, v5                                   // 00000000FD24: 68080B04
	v_lshlrev_b32_e32 v4, 2, v4                                // 00000000FD28: 24080882
	v_add_u32_e32 v68, v68, v4                                 // 00000000FD2C: 68880944
	v_add_u32_e32 v69, v69, v4                                 // 00000000FD30: 688A0945
	v_add_u32_e32 v70, v70, v4                                 // 00000000FD34: 688C0946
	v_add_u32_e32 v71, v71, v4                                 // 00000000FD38: 688E0947
	v_add_u32_e32 v72, v72, v4                                 // 00000000FD3C: 68900948
	v_add_u32_e32 v73, v73, v4                                 // 00000000FD40: 68920949
	v_add_u32_e32 v74, v74, v4                                 // 00000000FD44: 6894094A
	v_add_u32_e32 v75, v75, v4                                 // 00000000FD48: 6896094B
	v_add_u32_e32 v76, v76, v4                                 // 00000000FD4C: 6898094C
	v_add_u32_e32 v77, v77, v4                                 // 00000000FD50: 689A094D
	v_add_u32_e32 v78, v78, v4                                 // 00000000FD54: 689C094E
	v_add_u32_e32 v79, v79, v4                                 // 00000000FD58: 689E094F
	v_add_u32_e32 v80, v80, v4                                 // 00000000FD5C: 68A00950
	v_add_u32_e32 v81, v81, v4                                 // 00000000FD60: 68A20951
	v_add_u32_e32 v82, v82, v4                                 // 00000000FD64: 68A40952
	v_add_u32_e32 v83, v83, v4                                 // 00000000FD68: 68A60953
	v_add_u32_e32 v84, v84, v4                                 // 00000000FD6C: 68A80954
	v_add_u32_e32 v85, v85, v4                                 // 00000000FD70: 68AA0955
	v_add_u32_e32 v86, v86, v4                                 // 00000000FD74: 68AC0956
	v_add_u32_e32 v87, v87, v4                                 // 00000000FD78: 68AE0957
	s_waitcnt lgkmcnt(0)                                       // 00000000FD7C: BF8CC07F
	s_barrier                                                  // 00000000FD80: BF8A0000
	ds_read_b32 v92, v21                                       // 00000000FD84: D86C0000 5C000015
	ds_read_b32 v93, v21 offset:64                             // 00000000FD8C: D86C0040 5D000015
	ds_read_b32 v94, v21 offset:2176                           // 00000000FD94: D86C0880 5E000015
	ds_read_b32 v95, v21 offset:2240                           // 00000000FD9C: D86C08C0 5F000015
	ds_read_b32 v96, v21 offset:4352                           // 00000000FDA4: D86C1100 60000015
	ds_read_b32 v97, v21 offset:4416                           // 00000000FDAC: D86C1140 61000015
	ds_read_b32 v98, v21 offset:6528                           // 00000000FDB4: D86C1980 62000015
	ds_read_b32 v99, v21 offset:6592                           // 00000000FDBC: D86C19C0 63000015
	ds_read_b32 v100, v21 offset:8704                          // 00000000FDC4: D86C2200 64000015
	ds_read_b32 v101, v21 offset:8768                          // 00000000FDCC: D86C2240 65000015
	ds_read_b32 v102, v21 offset:10880                         // 00000000FDD4: D86C2A80 66000015
	ds_read_b32 v103, v21 offset:10944                         // 00000000FDDC: D86C2AC0 67000015
	ds_read_b32 v104, v21 offset:13056                         // 00000000FDE4: D86C3300 68000015
	ds_read_b32 v105, v21 offset:13120                         // 00000000FDEC: D86C3340 69000015
	ds_read_b32 v106, v21 offset:15232                         // 00000000FDF4: D86C3B80 6A000015
	ds_read_b32 v107, v21 offset:15296                         // 00000000FDFC: D86C3BC0 6B000015
	ds_read_b32 v108, v21 offset:17408                         // 00000000FE04: D86C4400 6C000015
	ds_read_b32 v109, v21 offset:17472                         // 00000000FE0C: D86C4440 6D000015
	ds_read_b32 v110, v21 offset:19584                         // 00000000FE14: D86C4C80 6E000015
	ds_read_b32 v111, v21 offset:19648                         // 00000000FE1C: D86C4CC0 6F000015
	s_waitcnt lgkmcnt(0)                                       // 00000000FE24: BF8CC07F
	s_mov_b32 s36, -1                                          // 00000000FE28: BEA400C1
	s_mov_b32 s37, -1                                          // 00000000FE2C: BEA500C1
	v_mov_b32_e32 v7, 0                                        // 00000000FE30: 7E0E0280
	s_or_b32 s9, s9, 0x40000                                   // 00000000FE34: 8709FF09 00040000
	s_mov_b64 exec, s[36:37]                                   // 00000000FE3C: BEFE0124
	v_mov_b32_e32 v6, v68                                      // 00000000FE40: 7E0C0344
	s_mov_b64 s[60:61], 0                                      // 00000000FE44: BEBC0180
	v_readlane_b32 s82, v3, 0                                  // 00000000FE48: D2890052 00010103
	s_and_b32 s82, s82, 0xffffff                               // 00000000FE50: 8652FF52 00FFFFFF
	s_cmp_lt_u32 s82, s66                                      // 00000000FE58: BF0A4252
	s_cselect_b32 s20, s36, s60                                // 00000000FE5C: 85143C24
	v_readlane_b32 s82, v3, 1                                  // 00000000FE60: D2890052 00010303
	s_and_b32 s82, s82, 0xffffff                               // 00000000FE68: 8652FF52 00FFFFFF
	s_cmp_lt_u32 s82, s66                                      // 00000000FE70: BF0A4252
	s_cselect_b32 s21, s36, s60                                // 00000000FE74: 85153C24
	s_mov_b64 exec, s[20:21]                                   // 00000000FE78: BEFE0114
	buffer_store_dword v92, v6, s[8:11], 0 offen               // 00000000FE7C: E0701000 80025C06
	s_mov_b64 exec, s[36:37]                                   // 00000000FE84: BEFE0124
	v_mov_b32_e32 v6, v69                                      // 00000000FE88: 7E0C0345
	s_mov_b64 s[60:61], 0                                      // 00000000FE8C: BEBC0180
	v_readlane_b32 s82, v3, 2                                  // 00000000FE90: D2890052 00010503
	s_and_b32 s82, s82, 0xffffff                               // 00000000FE98: 8652FF52 00FFFFFF
	s_cmp_lt_u32 s82, s66                                      // 00000000FEA0: BF0A4252
	s_cselect_b32 s20, s36, s60                                // 00000000FEA4: 85143C24
	v_readlane_b32 s82, v3, 3                                  // 00000000FEA8: D2890052 00010703
	s_and_b32 s82, s82, 0xffffff                               // 00000000FEB0: 8652FF52 00FFFFFF
	s_cmp_lt_u32 s82, s66                                      // 00000000FEB8: BF0A4252
	s_cselect_b32 s21, s36, s60                                // 00000000FEBC: 85153C24
	s_mov_b64 exec, s[20:21]                                   // 00000000FEC0: BEFE0114
	buffer_store_dword v93, v6, s[8:11], 0 offen               // 00000000FEC4: E0701000 80025D06
	s_mov_b64 exec, s[36:37]                                   // 00000000FECC: BEFE0124
	v_mov_b32_e32 v6, v70                                      // 00000000FED0: 7E0C0346
	s_mov_b64 s[60:61], 0                                      // 00000000FED4: BEBC0180
	v_readlane_b32 s82, v3, 4                                  // 00000000FED8: D2890052 00010903
	s_and_b32 s82, s82, 0xffffff                               // 00000000FEE0: 8652FF52 00FFFFFF
	s_cmp_lt_u32 s82, s66                                      // 00000000FEE8: BF0A4252
	s_cselect_b32 s20, s36, s60                                // 00000000FEEC: 85143C24
	v_readlane_b32 s82, v3, 5                                  // 00000000FEF0: D2890052 00010B03
	s_and_b32 s82, s82, 0xffffff                               // 00000000FEF8: 8652FF52 00FFFFFF
	s_cmp_lt_u32 s82, s66                                      // 00000000FF00: BF0A4252
	s_cselect_b32 s21, s36, s60                                // 00000000FF04: 85153C24
	s_mov_b64 exec, s[20:21]                                   // 00000000FF08: BEFE0114
	buffer_store_dword v94, v6, s[8:11], 0 offen               // 00000000FF0C: E0701000 80025E06
	s_mov_b64 exec, s[36:37]                                   // 00000000FF14: BEFE0124
	v_mov_b32_e32 v6, v71                                      // 00000000FF18: 7E0C0347
	s_mov_b64 s[60:61], 0                                      // 00000000FF1C: BEBC0180
	v_readlane_b32 s82, v3, 6                                  // 00000000FF20: D2890052 00010D03
	s_and_b32 s82, s82, 0xffffff                               // 00000000FF28: 8652FF52 00FFFFFF
	s_cmp_lt_u32 s82, s66                                      // 00000000FF30: BF0A4252
	s_cselect_b32 s20, s36, s60                                // 00000000FF34: 85143C24
	v_readlane_b32 s82, v3, 7                                  // 00000000FF38: D2890052 00010F03
	s_and_b32 s82, s82, 0xffffff                               // 00000000FF40: 8652FF52 00FFFFFF
	s_cmp_lt_u32 s82, s66                                      // 00000000FF48: BF0A4252
	s_cselect_b32 s21, s36, s60                                // 00000000FF4C: 85153C24
	s_mov_b64 exec, s[20:21]                                   // 00000000FF50: BEFE0114
	buffer_store_dword v95, v6, s[8:11], 0 offen               // 00000000FF54: E0701000 80025F06
	s_mov_b64 exec, s[36:37]                                   // 00000000FF5C: BEFE0124
	v_mov_b32_e32 v6, v72                                      // 00000000FF60: 7E0C0348
	s_mov_b64 s[60:61], 0                                      // 00000000FF64: BEBC0180
	v_readlane_b32 s82, v3, 8                                  // 00000000FF68: D2890052 00011103
	s_and_b32 s82, s82, 0xffffff                               // 00000000FF70: 8652FF52 00FFFFFF
	s_cmp_lt_u32 s82, s66                                      // 00000000FF78: BF0A4252
	s_cselect_b32 s20, s36, s60                                // 00000000FF7C: 85143C24
	v_readlane_b32 s82, v3, 9                                  // 00000000FF80: D2890052 00011303
	s_and_b32 s82, s82, 0xffffff                               // 00000000FF88: 8652FF52 00FFFFFF
	s_cmp_lt_u32 s82, s66                                      // 00000000FF90: BF0A4252
	s_cselect_b32 s21, s36, s60                                // 00000000FF94: 85153C24
	s_mov_b64 exec, s[20:21]                                   // 00000000FF98: BEFE0114
	buffer_store_dword v96, v6, s[8:11], 0 offen               // 00000000FF9C: E0701000 80026006
	s_mov_b64 exec, s[36:37]                                   // 00000000FFA4: BEFE0124
	v_mov_b32_e32 v6, v73                                      // 00000000FFA8: 7E0C0349
	s_mov_b64 s[60:61], 0                                      // 00000000FFAC: BEBC0180
	v_readlane_b32 s82, v3, 10                                 // 00000000FFB0: D2890052 00011503
	s_and_b32 s82, s82, 0xffffff                               // 00000000FFB8: 8652FF52 00FFFFFF
	s_cmp_lt_u32 s82, s66                                      // 00000000FFC0: BF0A4252
	s_cselect_b32 s20, s36, s60                                // 00000000FFC4: 85143C24
	v_readlane_b32 s82, v3, 11                                 // 00000000FFC8: D2890052 00011703
	s_and_b32 s82, s82, 0xffffff                               // 00000000FFD0: 8652FF52 00FFFFFF
	s_cmp_lt_u32 s82, s66                                      // 00000000FFD8: BF0A4252
	s_cselect_b32 s21, s36, s60                                // 00000000FFDC: 85153C24
	s_mov_b64 exec, s[20:21]                                   // 00000000FFE0: BEFE0114
	buffer_store_dword v97, v6, s[8:11], 0 offen               // 00000000FFE4: E0701000 80026106
	s_mov_b64 exec, s[36:37]                                   // 00000000FFEC: BEFE0124
	v_mov_b32_e32 v6, v74                                      // 00000000FFF0: 7E0C034A
	s_mov_b64 s[60:61], 0                                      // 00000000FFF4: BEBC0180
	v_readlane_b32 s82, v3, 12                                 // 00000000FFF8: D2890052 00011903
	s_and_b32 s82, s82, 0xffffff                               // 000000010000: 8652FF52 00FFFFFF
	s_cmp_lt_u32 s82, s66                                      // 000000010008: BF0A4252
	s_cselect_b32 s20, s36, s60                                // 00000001000C: 85143C24
	v_readlane_b32 s82, v3, 13                                 // 000000010010: D2890052 00011B03
	s_and_b32 s82, s82, 0xffffff                               // 000000010018: 8652FF52 00FFFFFF
	s_cmp_lt_u32 s82, s66                                      // 000000010020: BF0A4252
	s_cselect_b32 s21, s36, s60                                // 000000010024: 85153C24
	s_mov_b64 exec, s[20:21]                                   // 000000010028: BEFE0114
	buffer_store_dword v98, v6, s[8:11], 0 offen               // 00000001002C: E0701000 80026206
	s_mov_b64 exec, s[36:37]                                   // 000000010034: BEFE0124
	v_mov_b32_e32 v6, v75                                      // 000000010038: 7E0C034B
	s_mov_b64 s[60:61], 0                                      // 00000001003C: BEBC0180
	v_readlane_b32 s82, v3, 14                                 // 000000010040: D2890052 00011D03
	s_and_b32 s82, s82, 0xffffff                               // 000000010048: 8652FF52 00FFFFFF
	s_cmp_lt_u32 s82, s66                                      // 000000010050: BF0A4252
	s_cselect_b32 s20, s36, s60                                // 000000010054: 85143C24
	v_readlane_b32 s82, v3, 15                                 // 000000010058: D2890052 00011F03
	s_and_b32 s82, s82, 0xffffff                               // 000000010060: 8652FF52 00FFFFFF
	s_cmp_lt_u32 s82, s66                                      // 000000010068: BF0A4252
	s_cselect_b32 s21, s36, s60                                // 00000001006C: 85153C24
	s_mov_b64 exec, s[20:21]                                   // 000000010070: BEFE0114
	buffer_store_dword v99, v6, s[8:11], 0 offen               // 000000010074: E0701000 80026306
	s_mov_b64 exec, s[36:37]                                   // 00000001007C: BEFE0124
	v_mov_b32_e32 v6, v76                                      // 000000010080: 7E0C034C
	s_mov_b64 s[60:61], 0                                      // 000000010084: BEBC0180
	v_readlane_b32 s82, v3, 16                                 // 000000010088: D2890052 00012103
	s_and_b32 s82, s82, 0xffffff                               // 000000010090: 8652FF52 00FFFFFF
	s_cmp_lt_u32 s82, s66                                      // 000000010098: BF0A4252
	s_cselect_b32 s20, s36, s60                                // 00000001009C: 85143C24
	v_readlane_b32 s82, v3, 17                                 // 0000000100A0: D2890052 00012303
	s_and_b32 s82, s82, 0xffffff                               // 0000000100A8: 8652FF52 00FFFFFF
	s_cmp_lt_u32 s82, s66                                      // 0000000100B0: BF0A4252
	s_cselect_b32 s21, s36, s60                                // 0000000100B4: 85153C24
	s_mov_b64 exec, s[20:21]                                   // 0000000100B8: BEFE0114
	buffer_store_dword v100, v6, s[8:11], 0 offen              // 0000000100BC: E0701000 80026406
	s_mov_b64 exec, s[36:37]                                   // 0000000100C4: BEFE0124
	v_mov_b32_e32 v6, v77                                      // 0000000100C8: 7E0C034D
	s_mov_b64 s[60:61], 0                                      // 0000000100CC: BEBC0180
	v_readlane_b32 s82, v3, 18                                 // 0000000100D0: D2890052 00012503
	s_and_b32 s82, s82, 0xffffff                               // 0000000100D8: 8652FF52 00FFFFFF
	s_cmp_lt_u32 s82, s66                                      // 0000000100E0: BF0A4252
	s_cselect_b32 s20, s36, s60                                // 0000000100E4: 85143C24
	v_readlane_b32 s82, v3, 19                                 // 0000000100E8: D2890052 00012703
	s_and_b32 s82, s82, 0xffffff                               // 0000000100F0: 8652FF52 00FFFFFF
	s_cmp_lt_u32 s82, s66                                      // 0000000100F8: BF0A4252
	s_cselect_b32 s21, s36, s60                                // 0000000100FC: 85153C24
	s_mov_b64 exec, s[20:21]                                   // 000000010100: BEFE0114
	buffer_store_dword v101, v6, s[8:11], 0 offen              // 000000010104: E0701000 80026506
	s_mov_b64 exec, s[36:37]                                   // 00000001010C: BEFE0124
	v_mov_b32_e32 v6, v78                                      // 000000010110: 7E0C034E
	s_mov_b64 s[60:61], 0                                      // 000000010114: BEBC0180
	v_readlane_b32 s82, v3, 20                                 // 000000010118: D2890052 00012903
	s_and_b32 s82, s82, 0xffffff                               // 000000010120: 8652FF52 00FFFFFF
	s_cmp_lt_u32 s82, s66                                      // 000000010128: BF0A4252
	s_cselect_b32 s20, s36, s60                                // 00000001012C: 85143C24
	v_readlane_b32 s82, v3, 21                                 // 000000010130: D2890052 00012B03
	s_and_b32 s82, s82, 0xffffff                               // 000000010138: 8652FF52 00FFFFFF
	s_cmp_lt_u32 s82, s66                                      // 000000010140: BF0A4252
	s_cselect_b32 s21, s36, s60                                // 000000010144: 85153C24
	s_mov_b64 exec, s[20:21]                                   // 000000010148: BEFE0114
	buffer_store_dword v102, v6, s[8:11], 0 offen              // 00000001014C: E0701000 80026606
	s_mov_b64 exec, s[36:37]                                   // 000000010154: BEFE0124
	v_mov_b32_e32 v6, v79                                      // 000000010158: 7E0C034F
	s_mov_b64 s[60:61], 0                                      // 00000001015C: BEBC0180
	v_readlane_b32 s82, v3, 22                                 // 000000010160: D2890052 00012D03
	s_and_b32 s82, s82, 0xffffff                               // 000000010168: 8652FF52 00FFFFFF
	s_cmp_lt_u32 s82, s66                                      // 000000010170: BF0A4252
	s_cselect_b32 s20, s36, s60                                // 000000010174: 85143C24
	v_readlane_b32 s82, v3, 23                                 // 000000010178: D2890052 00012F03
	s_and_b32 s82, s82, 0xffffff                               // 000000010180: 8652FF52 00FFFFFF
	s_cmp_lt_u32 s82, s66                                      // 000000010188: BF0A4252
	s_cselect_b32 s21, s36, s60                                // 00000001018C: 85153C24
	s_mov_b64 exec, s[20:21]                                   // 000000010190: BEFE0114
	buffer_store_dword v103, v6, s[8:11], 0 offen              // 000000010194: E0701000 80026706
	s_mov_b64 exec, s[36:37]                                   // 00000001019C: BEFE0124
	v_mov_b32_e32 v6, v80                                      // 0000000101A0: 7E0C0350
	s_mov_b64 s[60:61], 0                                      // 0000000101A4: BEBC0180
	v_readlane_b32 s82, v3, 24                                 // 0000000101A8: D2890052 00013103
	s_and_b32 s82, s82, 0xffffff                               // 0000000101B0: 8652FF52 00FFFFFF
	s_cmp_lt_u32 s82, s66                                      // 0000000101B8: BF0A4252
	s_cselect_b32 s20, s36, s60                                // 0000000101BC: 85143C24
	v_readlane_b32 s82, v3, 25                                 // 0000000101C0: D2890052 00013303
	s_and_b32 s82, s82, 0xffffff                               // 0000000101C8: 8652FF52 00FFFFFF
	s_cmp_lt_u32 s82, s66                                      // 0000000101D0: BF0A4252
	s_cselect_b32 s21, s36, s60                                // 0000000101D4: 85153C24
	s_mov_b64 exec, s[20:21]                                   // 0000000101D8: BEFE0114
	buffer_store_dword v104, v6, s[8:11], 0 offen              // 0000000101DC: E0701000 80026806
	s_mov_b64 exec, s[36:37]                                   // 0000000101E4: BEFE0124
	v_mov_b32_e32 v6, v81                                      // 0000000101E8: 7E0C0351
	s_mov_b64 s[60:61], 0                                      // 0000000101EC: BEBC0180
	v_readlane_b32 s82, v3, 26                                 // 0000000101F0: D2890052 00013503
	s_and_b32 s82, s82, 0xffffff                               // 0000000101F8: 8652FF52 00FFFFFF
	s_cmp_lt_u32 s82, s66                                      // 000000010200: BF0A4252
	s_cselect_b32 s20, s36, s60                                // 000000010204: 85143C24
	v_readlane_b32 s82, v3, 27                                 // 000000010208: D2890052 00013703
	s_and_b32 s82, s82, 0xffffff                               // 000000010210: 8652FF52 00FFFFFF
	s_cmp_lt_u32 s82, s66                                      // 000000010218: BF0A4252
	s_cselect_b32 s21, s36, s60                                // 00000001021C: 85153C24
	s_mov_b64 exec, s[20:21]                                   // 000000010220: BEFE0114
	buffer_store_dword v105, v6, s[8:11], 0 offen              // 000000010224: E0701000 80026906
	s_mov_b64 exec, s[36:37]                                   // 00000001022C: BEFE0124
	v_mov_b32_e32 v6, v82                                      // 000000010230: 7E0C0352
	s_mov_b64 s[60:61], 0                                      // 000000010234: BEBC0180
	v_readlane_b32 s82, v3, 28                                 // 000000010238: D2890052 00013903
	s_and_b32 s82, s82, 0xffffff                               // 000000010240: 8652FF52 00FFFFFF
	s_cmp_lt_u32 s82, s66                                      // 000000010248: BF0A4252
	s_cselect_b32 s20, s36, s60                                // 00000001024C: 85143C24
	v_readlane_b32 s82, v3, 29                                 // 000000010250: D2890052 00013B03
	s_and_b32 s82, s82, 0xffffff                               // 000000010258: 8652FF52 00FFFFFF
	s_cmp_lt_u32 s82, s66                                      // 000000010260: BF0A4252
	s_cselect_b32 s21, s36, s60                                // 000000010264: 85153C24
	s_mov_b64 exec, s[20:21]                                   // 000000010268: BEFE0114
	buffer_store_dword v106, v6, s[8:11], 0 offen              // 00000001026C: E0701000 80026A06
	s_mov_b64 exec, s[36:37]                                   // 000000010274: BEFE0124
	v_mov_b32_e32 v6, v83                                      // 000000010278: 7E0C0353
	s_mov_b64 s[60:61], 0                                      // 00000001027C: BEBC0180
	v_readlane_b32 s82, v3, 30                                 // 000000010280: D2890052 00013D03
	s_and_b32 s82, s82, 0xffffff                               // 000000010288: 8652FF52 00FFFFFF
	s_cmp_lt_u32 s82, s66                                      // 000000010290: BF0A4252
	s_cselect_b32 s20, s36, s60                                // 000000010294: 85143C24
	v_readlane_b32 s82, v3, 31                                 // 000000010298: D2890052 00013F03
	s_and_b32 s82, s82, 0xffffff                               // 0000000102A0: 8652FF52 00FFFFFF
	s_cmp_lt_u32 s82, s66                                      // 0000000102A8: BF0A4252
	s_cselect_b32 s21, s36, s60                                // 0000000102AC: 85153C24
	s_mov_b64 exec, s[20:21]                                   // 0000000102B0: BEFE0114
	buffer_store_dword v107, v6, s[8:11], 0 offen              // 0000000102B4: E0701000 80026B06
	s_mov_b64 exec, s[36:37]                                   // 0000000102BC: BEFE0124
	v_mov_b32_e32 v6, v84                                      // 0000000102C0: 7E0C0354
	s_mov_b64 s[60:61], 0                                      // 0000000102C4: BEBC0180
	v_readlane_b32 s82, v3, 32                                 // 0000000102C8: D2890052 00014103
	s_and_b32 s82, s82, 0xffffff                               // 0000000102D0: 8652FF52 00FFFFFF
	s_cmp_lt_u32 s82, s66                                      // 0000000102D8: BF0A4252
	s_cselect_b32 s20, s36, s60                                // 0000000102DC: 85143C24
	v_readlane_b32 s82, v3, 33                                 // 0000000102E0: D2890052 00014303
	s_and_b32 s82, s82, 0xffffff                               // 0000000102E8: 8652FF52 00FFFFFF
	s_cmp_lt_u32 s82, s66                                      // 0000000102F0: BF0A4252
	s_cselect_b32 s21, s36, s60                                // 0000000102F4: 85153C24
	s_mov_b64 exec, s[20:21]                                   // 0000000102F8: BEFE0114
	buffer_store_dword v108, v6, s[8:11], 0 offen              // 0000000102FC: E0701000 80026C06
	s_mov_b64 exec, s[36:37]                                   // 000000010304: BEFE0124
	v_mov_b32_e32 v6, v85                                      // 000000010308: 7E0C0355
	s_mov_b64 s[60:61], 0                                      // 00000001030C: BEBC0180
	v_readlane_b32 s82, v3, 34                                 // 000000010310: D2890052 00014503
	s_and_b32 s82, s82, 0xffffff                               // 000000010318: 8652FF52 00FFFFFF
	s_cmp_lt_u32 s82, s66                                      // 000000010320: BF0A4252
	s_cselect_b32 s20, s36, s60                                // 000000010324: 85143C24
	v_readlane_b32 s82, v3, 35                                 // 000000010328: D2890052 00014703
	s_and_b32 s82, s82, 0xffffff                               // 000000010330: 8652FF52 00FFFFFF
	s_cmp_lt_u32 s82, s66                                      // 000000010338: BF0A4252
	s_cselect_b32 s21, s36, s60                                // 00000001033C: 85153C24
	s_mov_b64 exec, s[20:21]                                   // 000000010340: BEFE0114
	buffer_store_dword v109, v6, s[8:11], 0 offen              // 000000010344: E0701000 80026D06
	s_mov_b64 exec, s[36:37]                                   // 00000001034C: BEFE0124
	v_mov_b32_e32 v6, v86                                      // 000000010350: 7E0C0356
	s_mov_b64 s[60:61], 0                                      // 000000010354: BEBC0180
	v_readlane_b32 s82, v3, 36                                 // 000000010358: D2890052 00014903
	s_and_b32 s82, s82, 0xffffff                               // 000000010360: 8652FF52 00FFFFFF
	s_cmp_lt_u32 s82, s66                                      // 000000010368: BF0A4252
	s_cselect_b32 s20, s36, s60                                // 00000001036C: 85143C24
	v_readlane_b32 s82, v3, 37                                 // 000000010370: D2890052 00014B03
	s_and_b32 s82, s82, 0xffffff                               // 000000010378: 8652FF52 00FFFFFF
	s_cmp_lt_u32 s82, s66                                      // 000000010380: BF0A4252
	s_cselect_b32 s21, s36, s60                                // 000000010384: 85153C24
	s_mov_b64 exec, s[20:21]                                   // 000000010388: BEFE0114
	buffer_store_dword v110, v6, s[8:11], 0 offen              // 00000001038C: E0701000 80026E06
	s_mov_b64 exec, s[36:37]                                   // 000000010394: BEFE0124
	v_mov_b32_e32 v6, v87                                      // 000000010398: 7E0C0357
	s_mov_b64 s[60:61], 0                                      // 00000001039C: BEBC0180
	v_readlane_b32 s82, v3, 38                                 // 0000000103A0: D2890052 00014D03
	s_and_b32 s82, s82, 0xffffff                               // 0000000103A8: 8652FF52 00FFFFFF
	s_cmp_lt_u32 s82, s66                                      // 0000000103B0: BF0A4252
	s_cselect_b32 s20, s36, s60                                // 0000000103B4: 85143C24
	v_readlane_b32 s82, v3, 39                                 // 0000000103B8: D2890052 00014F03
	s_and_b32 s82, s82, 0xffffff                               // 0000000103C0: 8652FF52 00FFFFFF
	s_cmp_lt_u32 s82, s66                                      // 0000000103C8: BF0A4252
	s_cselect_b32 s21, s36, s60                                // 0000000103CC: 85153C24
	s_mov_b64 exec, s[20:21]                                   // 0000000103D0: BEFE0114
	buffer_store_dword v111, v6, s[8:11], 0 offen              // 0000000103D4: E0701000 80026F06
	s_mov_b64 exec, s[36:37]                                   // 0000000103DC: BEFE0124
	s_cmp_eq_u32 s7, 0                                         // 0000000103E0: BF068007
	s_cbranch_scc0 label_40FC                                  // 0000000103E4: BF840A7F
	s_waitcnt vmcnt(20)                                        // 0000000103E8: BF8C4F74
	s_mov_b32 s8, s90                                          // 0000000103EC: BE88005A
	s_mov_b32 s9, s91                                          // 0000000103F0: BE89005B
	s_mul_i32 s60, s66, s71                                    // 0000000103F4: 923C4742
	s_add_u32 s8, s60, s8                                      // 0000000103F8: 8008083C
	s_addc_u32 s9, 0, s9                                       // 0000000103FC: 82090980
	s_lshr_b32 s71, s71, 5                                     // 000000010400: 8F478547
	s_mul_i32 s60, s66, s71                                    // 000000010404: 923C4742
	s_mov_b32 s10, s60                                         // 000000010408: BE8A003C
	s_lshr_b32 s61, s65, 5                                     // 00000001040C: 8F3D8541
	s_mul_i32 s60, s2, 4                                       // 000000010410: 923C8402
	v_lshrrev_b32_e32 v4, 24, v28                              // 000000010414: 20083898
	v_mul_lo_u32 v4, s61, v4                                   // 000000010418: D2850004 0002083D
	v_and_b32_e32 v28, 0xffffff, v28                           // 000000010420: 263838FF 00FFFFFF
	v_mul_lo_u32 v28, s71, v28                                 // 000000010428: D285001C 00023847
	v_add_u32_e32 v28, v4, v28                                 // 000000010430: 68383904
	v_add_u32_e32 v28, s60, v28                                // 000000010434: 6838383C
	v_lshrrev_b32_e32 v4, 24, v29                              // 000000010438: 20083A98
	v_mul_lo_u32 v4, s61, v4                                   // 00000001043C: D2850004 0002083D
	v_and_b32_e32 v29, 0xffffff, v29                           // 000000010444: 263A3AFF 00FFFFFF
	v_mul_lo_u32 v29, s71, v29                                 // 00000001044C: D285001D 00023A47
	v_add_u32_e32 v29, v4, v29                                 // 000000010454: 683A3B04
	v_add_u32_e32 v29, s60, v29                                // 000000010458: 683A3A3C
	v_lshrrev_b32_e32 v4, 24, v30                              // 00000001045C: 20083C98
	v_mul_lo_u32 v4, s61, v4                                   // 000000010460: D2850004 0002083D
	v_and_b32_e32 v30, 0xffffff, v30                           // 000000010468: 263C3CFF 00FFFFFF
	v_mul_lo_u32 v30, s71, v30                                 // 000000010470: D285001E 00023C47
	v_add_u32_e32 v30, v4, v30                                 // 000000010478: 683C3D04
	v_add_u32_e32 v30, s60, v30                                // 00000001047C: 683C3C3C
	v_lshrrev_b32_e32 v4, 24, v31                              // 000000010480: 20083E98
	v_mul_lo_u32 v4, s61, v4                                   // 000000010484: D2850004 0002083D
	v_and_b32_e32 v31, 0xffffff, v31                           // 00000001048C: 263E3EFF 00FFFFFF
	v_mul_lo_u32 v31, s71, v31                                 // 000000010494: D285001F 00023E47
	v_add_u32_e32 v31, v4, v31                                 // 00000001049C: 683E3F04
	v_add_u32_e32 v31, s60, v31                                // 0000000104A0: 683E3E3C
	v_lshrrev_b32_e32 v4, 24, v32                              // 0000000104A4: 20084098
	v_mul_lo_u32 v4, s61, v4                                   // 0000000104A8: D2850004 0002083D
	v_and_b32_e32 v32, 0xffffff, v32                           // 0000000104B0: 264040FF 00FFFFFF
	v_mul_lo_u32 v32, s71, v32                                 // 0000000104B8: D2850020 00024047
	v_add_u32_e32 v32, v4, v32                                 // 0000000104C0: 68404104
	v_add_u32_e32 v32, s60, v32                                // 0000000104C4: 6840403C
	v_lshrrev_b32_e32 v4, 24, v33                              // 0000000104C8: 20084298
	v_mul_lo_u32 v4, s61, v4                                   // 0000000104CC: D2850004 0002083D
	v_and_b32_e32 v33, 0xffffff, v33                           // 0000000104D4: 264242FF 00FFFFFF
	v_mul_lo_u32 v33, s71, v33                                 // 0000000104DC: D2850021 00024247
	v_add_u32_e32 v33, v4, v33                                 // 0000000104E4: 68424304
	v_add_u32_e32 v33, s60, v33                                // 0000000104E8: 6842423C
	v_lshrrev_b32_e32 v4, 24, v34                              // 0000000104EC: 20084498
	v_mul_lo_u32 v4, s61, v4                                   // 0000000104F0: D2850004 0002083D
	v_and_b32_e32 v34, 0xffffff, v34                           // 0000000104F8: 264444FF 00FFFFFF
	v_mul_lo_u32 v34, s71, v34                                 // 000000010500: D2850022 00024447
	v_add_u32_e32 v34, v4, v34                                 // 000000010508: 68444504
	v_add_u32_e32 v34, s60, v34                                // 00000001050C: 6844443C
	v_lshrrev_b32_e32 v4, 24, v35                              // 000000010510: 20084698
	v_mul_lo_u32 v4, s61, v4                                   // 000000010514: D2850004 0002083D
	v_and_b32_e32 v35, 0xffffff, v35                           // 00000001051C: 264646FF 00FFFFFF
	v_mul_lo_u32 v35, s71, v35                                 // 000000010524: D2850023 00024647
	v_add_u32_e32 v35, v4, v35                                 // 00000001052C: 68464704
	v_add_u32_e32 v35, s60, v35                                // 000000010530: 6846463C
	v_lshrrev_b32_e32 v4, 24, v36                              // 000000010534: 20084898
	v_mul_lo_u32 v4, s61, v4                                   // 000000010538: D2850004 0002083D
	v_and_b32_e32 v36, 0xffffff, v36                           // 000000010540: 264848FF 00FFFFFF
	v_mul_lo_u32 v36, s71, v36                                 // 000000010548: D2850024 00024847
	v_add_u32_e32 v36, v4, v36                                 // 000000010550: 68484904
	v_add_u32_e32 v36, s60, v36                                // 000000010554: 6848483C
	v_lshrrev_b32_e32 v4, 24, v37                              // 000000010558: 20084A98
	v_mul_lo_u32 v4, s61, v4                                   // 00000001055C: D2850004 0002083D
	v_and_b32_e32 v37, 0xffffff, v37                           // 000000010564: 264A4AFF 00FFFFFF
	v_mul_lo_u32 v37, s71, v37                                 // 00000001056C: D2850025 00024A47
	v_add_u32_e32 v37, v4, v37                                 // 000000010574: 684A4B04
	v_add_u32_e32 v37, s60, v37                                // 000000010578: 684A4A3C
	s_mov_b64 exec, 0xffff                                     // 00000001057C: BEFE01FF 0000FFFF
	buffer_store_dword v172, v28, s[8:11], 0 offen             // 000000010584: E0701000 8002AC1C
	buffer_store_dword v173, v29, s[8:11], 0 offen             // 00000001058C: E0701000 8002AD1D
	buffer_store_dword v174, v30, s[8:11], 0 offen             // 000000010594: E0701000 8002AE1E
	buffer_store_dword v175, v31, s[8:11], 0 offen             // 00000001059C: E0701000 8002AF1F
	buffer_store_dword v176, v32, s[8:11], 0 offen             // 0000000105A4: E0701000 8002B020
	buffer_store_dword v177, v33, s[8:11], 0 offen             // 0000000105AC: E0701000 8002B121
	buffer_store_dword v178, v34, s[8:11], 0 offen             // 0000000105B4: E0701000 8002B222
	buffer_store_dword v179, v35, s[8:11], 0 offen             // 0000000105BC: E0701000 8002B323
	buffer_store_dword v180, v36, s[8:11], 0 offen             // 0000000105C4: E0701000 8002B424
	buffer_store_dword v181, v37, s[8:11], 0 offen             // 0000000105CC: E0701000 8002B525
	s_mov_b64 exec, s[36:37]                                   // 0000000105D4: BEFE0124
	s_branch label_40FC                                        // 0000000105D8: BF820A02

00000000000105dc <label_36FA>:
	ds_write_b64 v20, v[92:93]                                 // 0000000105DC: D89A0000 00005C14
	ds_write_b64 v20, v[96:97] offset:4352                     // 0000000105E4: D89A1100 00006014
	ds_write_b64 v20, v[100:101] offset:8704                   // 0000000105EC: D89A2200 00006414
	ds_write_b64 v20, v[104:105] offset:13056                  // 0000000105F4: D89A3300 00006814
	ds_write_b64 v20, v[108:109] offset:17408                  // 0000000105FC: D89A4400 00006C14
	ds_write_b64 v20, v[112:113] offset:21760                  // 000000010604: D89A5500 00007014
	ds_write_b64 v20, v[116:117] offset:26112                  // 00000001060C: D89A6600 00007414
	ds_write_b64 v20, v[120:121] offset:30464                  // 000000010614: D89A7700 00007814
	ds_write_b64 v20, v[124:125] offset:34816                  // 00000001061C: D89A8800 00007C14
	ds_write_b64 v20, v[128:129] offset:39168                  // 000000010624: D89A9900 00008014
	ds_write_b64 v20, v[132:133] offset:2176                   // 00000001062C: D89A0880 00008414
	ds_write_b64 v20, v[136:137] offset:6528                   // 000000010634: D89A1980 00008814
	ds_write_b64 v20, v[140:141] offset:10880                  // 00000001063C: D89A2A80 00008C14
	ds_write_b64 v20, v[144:145] offset:15232                  // 000000010644: D89A3B80 00009014
	ds_write_b64 v20, v[148:149] offset:19584                  // 00000001064C: D89A4C80 00009414
	ds_write_b64 v20, v[152:153] offset:23936                  // 000000010654: D89A5D80 00009814
	ds_write_b64 v20, v[156:157] offset:28288                  // 00000001065C: D89A6E80 00009C14
	ds_write_b64 v20, v[160:161] offset:32640                  // 000000010664: D89A7F80 0000A014
	ds_write_b64 v20, v[164:165] offset:36992                  // 00000001066C: D89A9080 0000A414
	ds_write_b64 v20, v[168:169] offset:41344                  // 000000010674: D89AA180 0000A814
	v_lshrrev_b32_e32 v4, 5, v0                                // 00000001067C: 20080085
	v_xor_b32_e32 v5, 1, v4                                    // 000000010680: 2A0A0881
	s_mul_i32 s60, s65, 1                                      // 000000010684: 923C8141
	s_cmp_eq_u32 s88, 0                                        // 000000010688: BF068058
	s_cselect_b32 s61, 1, 8                                    // 00000001068C: 853D8881
	s_mul_i32 s60, s61, s60                                    // 000000010690: 923C3C3D
	v_readlane_b32 s82, v3, 0                                  // 000000010694: D2890052 00010103
	s_lshr_b32 s61, s82, 24                                    // 00000001069C: 8F3D9852
	s_and_b32 s82, s82, 0xffffff                               // 0000000106A0: 8652FF52 00FFFFFF
	s_mul_i32 s82, s82, s71                                    // 0000000106A8: 92524752
	s_mul_i32 s61, s60, s61                                    // 0000000106AC: 923D3D3C
	s_add_u32 s82, s82, s61                                    // 0000000106B0: 80523D52
	v_mul_lo_u32 v6, v5, s82                                   // 0000000106B4: D2850006 0000A505
	v_readlane_b32 s82, v3, 1                                  // 0000000106BC: D2890052 00010303
	s_lshr_b32 s61, s82, 24                                    // 0000000106C4: 8F3D9852
	s_and_b32 s82, s82, 0xffffff                               // 0000000106C8: 8652FF52 00FFFFFF
	s_mul_i32 s82, s82, s71                                    // 0000000106D0: 92524752
	s_mul_i32 s61, s60, s61                                    // 0000000106D4: 923D3D3C
	s_add_u32 s82, s82, s61                                    // 0000000106D8: 80523D52
	v_mul_lo_u32 v7, v4, s82                                   // 0000000106DC: D2850007 0000A504
	v_add_u32_e32 v68, v6, v7                                  // 0000000106E4: 68880F06
	v_readlane_b32 s82, v3, 2                                  // 0000000106E8: D2890052 00010503
	s_lshr_b32 s61, s82, 24                                    // 0000000106F0: 8F3D9852
	s_and_b32 s82, s82, 0xffffff                               // 0000000106F4: 8652FF52 00FFFFFF
	s_mul_i32 s82, s82, s71                                    // 0000000106FC: 92524752
	s_mul_i32 s61, s60, s61                                    // 000000010700: 923D3D3C
	s_add_u32 s82, s82, s61                                    // 000000010704: 80523D52
	v_mul_lo_u32 v6, v5, s82                                   // 000000010708: D2850006 0000A505
	v_readlane_b32 s82, v3, 3                                  // 000000010710: D2890052 00010703
	s_lshr_b32 s61, s82, 24                                    // 000000010718: 8F3D9852
	s_and_b32 s82, s82, 0xffffff                               // 00000001071C: 8652FF52 00FFFFFF
	s_mul_i32 s82, s82, s71                                    // 000000010724: 92524752
	s_mul_i32 s61, s60, s61                                    // 000000010728: 923D3D3C
	s_add_u32 s82, s82, s61                                    // 00000001072C: 80523D52
	v_mul_lo_u32 v7, v4, s82                                   // 000000010730: D2850007 0000A504
	v_add_u32_e32 v69, v6, v7                                  // 000000010738: 688A0F06
	v_readlane_b32 s82, v3, 4                                  // 00000001073C: D2890052 00010903
	s_lshr_b32 s61, s82, 24                                    // 000000010744: 8F3D9852
	s_and_b32 s82, s82, 0xffffff                               // 000000010748: 8652FF52 00FFFFFF
	s_mul_i32 s82, s82, s71                                    // 000000010750: 92524752
	s_mul_i32 s61, s60, s61                                    // 000000010754: 923D3D3C
	s_add_u32 s82, s82, s61                                    // 000000010758: 80523D52
	v_mul_lo_u32 v6, v5, s82                                   // 00000001075C: D2850006 0000A505
	v_readlane_b32 s82, v3, 5                                  // 000000010764: D2890052 00010B03
	s_lshr_b32 s61, s82, 24                                    // 00000001076C: 8F3D9852
	s_and_b32 s82, s82, 0xffffff                               // 000000010770: 8652FF52 00FFFFFF
	s_mul_i32 s82, s82, s71                                    // 000000010778: 92524752
	s_mul_i32 s61, s60, s61                                    // 00000001077C: 923D3D3C
	s_add_u32 s82, s82, s61                                    // 000000010780: 80523D52
	v_mul_lo_u32 v7, v4, s82                                   // 000000010784: D2850007 0000A504
	v_add_u32_e32 v70, v6, v7                                  // 00000001078C: 688C0F06
	v_readlane_b32 s82, v3, 6                                  // 000000010790: D2890052 00010D03
	s_lshr_b32 s61, s82, 24                                    // 000000010798: 8F3D9852
	s_and_b32 s82, s82, 0xffffff                               // 00000001079C: 8652FF52 00FFFFFF
	s_mul_i32 s82, s82, s71                                    // 0000000107A4: 92524752
	s_mul_i32 s61, s60, s61                                    // 0000000107A8: 923D3D3C
	s_add_u32 s82, s82, s61                                    // 0000000107AC: 80523D52
	v_mul_lo_u32 v6, v5, s82                                   // 0000000107B0: D2850006 0000A505
	v_readlane_b32 s82, v3, 7                                  // 0000000107B8: D2890052 00010F03
	s_lshr_b32 s61, s82, 24                                    // 0000000107C0: 8F3D9852
	s_and_b32 s82, s82, 0xffffff                               // 0000000107C4: 8652FF52 00FFFFFF
	s_mul_i32 s82, s82, s71                                    // 0000000107CC: 92524752
	s_mul_i32 s61, s60, s61                                    // 0000000107D0: 923D3D3C
	s_add_u32 s82, s82, s61                                    // 0000000107D4: 80523D52
	v_mul_lo_u32 v7, v4, s82                                   // 0000000107D8: D2850007 0000A504
	v_add_u32_e32 v71, v6, v7                                  // 0000000107E0: 688E0F06
	v_readlane_b32 s82, v3, 8                                  // 0000000107E4: D2890052 00011103
	s_lshr_b32 s61, s82, 24                                    // 0000000107EC: 8F3D9852
	s_and_b32 s82, s82, 0xffffff                               // 0000000107F0: 8652FF52 00FFFFFF
	s_mul_i32 s82, s82, s71                                    // 0000000107F8: 92524752
	s_mul_i32 s61, s60, s61                                    // 0000000107FC: 923D3D3C
	s_add_u32 s82, s82, s61                                    // 000000010800: 80523D52
	v_mul_lo_u32 v6, v5, s82                                   // 000000010804: D2850006 0000A505
	v_readlane_b32 s82, v3, 9                                  // 00000001080C: D2890052 00011303
	s_lshr_b32 s61, s82, 24                                    // 000000010814: 8F3D9852
	s_and_b32 s82, s82, 0xffffff                               // 000000010818: 8652FF52 00FFFFFF
	s_mul_i32 s82, s82, s71                                    // 000000010820: 92524752
	s_mul_i32 s61, s60, s61                                    // 000000010824: 923D3D3C
	s_add_u32 s82, s82, s61                                    // 000000010828: 80523D52
	v_mul_lo_u32 v7, v4, s82                                   // 00000001082C: D2850007 0000A504
	v_add_u32_e32 v72, v6, v7                                  // 000000010834: 68900F06
	v_readlane_b32 s82, v3, 10                                 // 000000010838: D2890052 00011503
	s_lshr_b32 s61, s82, 24                                    // 000000010840: 8F3D9852
	s_and_b32 s82, s82, 0xffffff                               // 000000010844: 8652FF52 00FFFFFF
	s_mul_i32 s82, s82, s71                                    // 00000001084C: 92524752
	s_mul_i32 s61, s60, s61                                    // 000000010850: 923D3D3C
	s_add_u32 s82, s82, s61                                    // 000000010854: 80523D52
	v_mul_lo_u32 v6, v5, s82                                   // 000000010858: D2850006 0000A505
	v_readlane_b32 s82, v3, 11                                 // 000000010860: D2890052 00011703
	s_lshr_b32 s61, s82, 24                                    // 000000010868: 8F3D9852
	s_and_b32 s82, s82, 0xffffff                               // 00000001086C: 8652FF52 00FFFFFF
	s_mul_i32 s82, s82, s71                                    // 000000010874: 92524752
	s_mul_i32 s61, s60, s61                                    // 000000010878: 923D3D3C
	s_add_u32 s82, s82, s61                                    // 00000001087C: 80523D52
	v_mul_lo_u32 v7, v4, s82                                   // 000000010880: D2850007 0000A504
	v_add_u32_e32 v73, v6, v7                                  // 000000010888: 68920F06
	v_readlane_b32 s82, v3, 12                                 // 00000001088C: D2890052 00011903
	s_lshr_b32 s61, s82, 24                                    // 000000010894: 8F3D9852
	s_and_b32 s82, s82, 0xffffff                               // 000000010898: 8652FF52 00FFFFFF
	s_mul_i32 s82, s82, s71                                    // 0000000108A0: 92524752
	s_mul_i32 s61, s60, s61                                    // 0000000108A4: 923D3D3C
	s_add_u32 s82, s82, s61                                    // 0000000108A8: 80523D52
	v_mul_lo_u32 v6, v5, s82                                   // 0000000108AC: D2850006 0000A505
	v_readlane_b32 s82, v3, 13                                 // 0000000108B4: D2890052 00011B03
	s_lshr_b32 s61, s82, 24                                    // 0000000108BC: 8F3D9852
	s_and_b32 s82, s82, 0xffffff                               // 0000000108C0: 8652FF52 00FFFFFF
	s_mul_i32 s82, s82, s71                                    // 0000000108C8: 92524752
	s_mul_i32 s61, s60, s61                                    // 0000000108CC: 923D3D3C
	s_add_u32 s82, s82, s61                                    // 0000000108D0: 80523D52
	v_mul_lo_u32 v7, v4, s82                                   // 0000000108D4: D2850007 0000A504
	v_add_u32_e32 v74, v6, v7                                  // 0000000108DC: 68940F06
	v_readlane_b32 s82, v3, 14                                 // 0000000108E0: D2890052 00011D03
	s_lshr_b32 s61, s82, 24                                    // 0000000108E8: 8F3D9852
	s_and_b32 s82, s82, 0xffffff                               // 0000000108EC: 8652FF52 00FFFFFF
	s_mul_i32 s82, s82, s71                                    // 0000000108F4: 92524752
	s_mul_i32 s61, s60, s61                                    // 0000000108F8: 923D3D3C
	s_add_u32 s82, s82, s61                                    // 0000000108FC: 80523D52
	v_mul_lo_u32 v6, v5, s82                                   // 000000010900: D2850006 0000A505
	v_readlane_b32 s82, v3, 15                                 // 000000010908: D2890052 00011F03
	s_lshr_b32 s61, s82, 24                                    // 000000010910: 8F3D9852
	s_and_b32 s82, s82, 0xffffff                               // 000000010914: 8652FF52 00FFFFFF
	s_mul_i32 s82, s82, s71                                    // 00000001091C: 92524752
	s_mul_i32 s61, s60, s61                                    // 000000010920: 923D3D3C
	s_add_u32 s82, s82, s61                                    // 000000010924: 80523D52
	v_mul_lo_u32 v7, v4, s82                                   // 000000010928: D2850007 0000A504
	v_add_u32_e32 v75, v6, v7                                  // 000000010930: 68960F06
	v_readlane_b32 s82, v3, 16                                 // 000000010934: D2890052 00012103
	s_lshr_b32 s61, s82, 24                                    // 00000001093C: 8F3D9852
	s_and_b32 s82, s82, 0xffffff                               // 000000010940: 8652FF52 00FFFFFF
	s_mul_i32 s82, s82, s71                                    // 000000010948: 92524752
	s_mul_i32 s61, s60, s61                                    // 00000001094C: 923D3D3C
	s_add_u32 s82, s82, s61                                    // 000000010950: 80523D52
	v_mul_lo_u32 v6, v5, s82                                   // 000000010954: D2850006 0000A505
	v_readlane_b32 s82, v3, 17                                 // 00000001095C: D2890052 00012303
	s_lshr_b32 s61, s82, 24                                    // 000000010964: 8F3D9852
	s_and_b32 s82, s82, 0xffffff                               // 000000010968: 8652FF52 00FFFFFF
	s_mul_i32 s82, s82, s71                                    // 000000010970: 92524752
	s_mul_i32 s61, s60, s61                                    // 000000010974: 923D3D3C
	s_add_u32 s82, s82, s61                                    // 000000010978: 80523D52
	v_mul_lo_u32 v7, v4, s82                                   // 00000001097C: D2850007 0000A504
	v_add_u32_e32 v76, v6, v7                                  // 000000010984: 68980F06
	v_readlane_b32 s82, v3, 18                                 // 000000010988: D2890052 00012503
	s_lshr_b32 s61, s82, 24                                    // 000000010990: 8F3D9852
	s_and_b32 s82, s82, 0xffffff                               // 000000010994: 8652FF52 00FFFFFF
	s_mul_i32 s82, s82, s71                                    // 00000001099C: 92524752
	s_mul_i32 s61, s60, s61                                    // 0000000109A0: 923D3D3C
	s_add_u32 s82, s82, s61                                    // 0000000109A4: 80523D52
	v_mul_lo_u32 v6, v5, s82                                   // 0000000109A8: D2850006 0000A505
	v_readlane_b32 s82, v3, 19                                 // 0000000109B0: D2890052 00012703
	s_lshr_b32 s61, s82, 24                                    // 0000000109B8: 8F3D9852
	s_and_b32 s82, s82, 0xffffff                               // 0000000109BC: 8652FF52 00FFFFFF
	s_mul_i32 s82, s82, s71                                    // 0000000109C4: 92524752
	s_mul_i32 s61, s60, s61                                    // 0000000109C8: 923D3D3C
	s_add_u32 s82, s82, s61                                    // 0000000109CC: 80523D52
	v_mul_lo_u32 v7, v4, s82                                   // 0000000109D0: D2850007 0000A504
	v_add_u32_e32 v77, v6, v7                                  // 0000000109D8: 689A0F06
	v_readlane_b32 s82, v3, 20                                 // 0000000109DC: D2890052 00012903
	s_lshr_b32 s61, s82, 24                                    // 0000000109E4: 8F3D9852
	s_and_b32 s82, s82, 0xffffff                               // 0000000109E8: 8652FF52 00FFFFFF
	s_mul_i32 s82, s82, s71                                    // 0000000109F0: 92524752
	s_mul_i32 s61, s60, s61                                    // 0000000109F4: 923D3D3C
	s_add_u32 s82, s82, s61                                    // 0000000109F8: 80523D52
	v_mul_lo_u32 v6, v5, s82                                   // 0000000109FC: D2850006 0000A505
	v_readlane_b32 s82, v3, 21                                 // 000000010A04: D2890052 00012B03
	s_lshr_b32 s61, s82, 24                                    // 000000010A0C: 8F3D9852
	s_and_b32 s82, s82, 0xffffff                               // 000000010A10: 8652FF52 00FFFFFF
	s_mul_i32 s82, s82, s71                                    // 000000010A18: 92524752
	s_mul_i32 s61, s60, s61                                    // 000000010A1C: 923D3D3C
	s_add_u32 s82, s82, s61                                    // 000000010A20: 80523D52
	v_mul_lo_u32 v7, v4, s82                                   // 000000010A24: D2850007 0000A504
	v_add_u32_e32 v78, v6, v7                                  // 000000010A2C: 689C0F06
	v_readlane_b32 s82, v3, 22                                 // 000000010A30: D2890052 00012D03
	s_lshr_b32 s61, s82, 24                                    // 000000010A38: 8F3D9852
	s_and_b32 s82, s82, 0xffffff                               // 000000010A3C: 8652FF52 00FFFFFF
	s_mul_i32 s82, s82, s71                                    // 000000010A44: 92524752
	s_mul_i32 s61, s60, s61                                    // 000000010A48: 923D3D3C
	s_add_u32 s82, s82, s61                                    // 000000010A4C: 80523D52
	v_mul_lo_u32 v6, v5, s82                                   // 000000010A50: D2850006 0000A505
	v_readlane_b32 s82, v3, 23                                 // 000000010A58: D2890052 00012F03
	s_lshr_b32 s61, s82, 24                                    // 000000010A60: 8F3D9852
	s_and_b32 s82, s82, 0xffffff                               // 000000010A64: 8652FF52 00FFFFFF
	s_mul_i32 s82, s82, s71                                    // 000000010A6C: 92524752
	s_mul_i32 s61, s60, s61                                    // 000000010A70: 923D3D3C
	s_add_u32 s82, s82, s61                                    // 000000010A74: 80523D52
	v_mul_lo_u32 v7, v4, s82                                   // 000000010A78: D2850007 0000A504
	v_add_u32_e32 v79, v6, v7                                  // 000000010A80: 689E0F06
	v_readlane_b32 s82, v3, 24                                 // 000000010A84: D2890052 00013103
	s_lshr_b32 s61, s82, 24                                    // 000000010A8C: 8F3D9852
	s_and_b32 s82, s82, 0xffffff                               // 000000010A90: 8652FF52 00FFFFFF
	s_mul_i32 s82, s82, s71                                    // 000000010A98: 92524752
	s_mul_i32 s61, s60, s61                                    // 000000010A9C: 923D3D3C
	s_add_u32 s82, s82, s61                                    // 000000010AA0: 80523D52
	v_mul_lo_u32 v6, v5, s82                                   // 000000010AA4: D2850006 0000A505
	v_readlane_b32 s82, v3, 25                                 // 000000010AAC: D2890052 00013303
	s_lshr_b32 s61, s82, 24                                    // 000000010AB4: 8F3D9852
	s_and_b32 s82, s82, 0xffffff                               // 000000010AB8: 8652FF52 00FFFFFF
	s_mul_i32 s82, s82, s71                                    // 000000010AC0: 92524752
	s_mul_i32 s61, s60, s61                                    // 000000010AC4: 923D3D3C
	s_add_u32 s82, s82, s61                                    // 000000010AC8: 80523D52
	v_mul_lo_u32 v7, v4, s82                                   // 000000010ACC: D2850007 0000A504
	v_add_u32_e32 v80, v6, v7                                  // 000000010AD4: 68A00F06
	v_readlane_b32 s82, v3, 26                                 // 000000010AD8: D2890052 00013503
	s_lshr_b32 s61, s82, 24                                    // 000000010AE0: 8F3D9852
	s_and_b32 s82, s82, 0xffffff                               // 000000010AE4: 8652FF52 00FFFFFF
	s_mul_i32 s82, s82, s71                                    // 000000010AEC: 92524752
	s_mul_i32 s61, s60, s61                                    // 000000010AF0: 923D3D3C
	s_add_u32 s82, s82, s61                                    // 000000010AF4: 80523D52
	v_mul_lo_u32 v6, v5, s82                                   // 000000010AF8: D2850006 0000A505
	v_readlane_b32 s82, v3, 27                                 // 000000010B00: D2890052 00013703
	s_lshr_b32 s61, s82, 24                                    // 000000010B08: 8F3D9852
	s_and_b32 s82, s82, 0xffffff                               // 000000010B0C: 8652FF52 00FFFFFF
	s_mul_i32 s82, s82, s71                                    // 000000010B14: 92524752
	s_mul_i32 s61, s60, s61                                    // 000000010B18: 923D3D3C
	s_add_u32 s82, s82, s61                                    // 000000010B1C: 80523D52
	v_mul_lo_u32 v7, v4, s82                                   // 000000010B20: D2850007 0000A504
	v_add_u32_e32 v81, v6, v7                                  // 000000010B28: 68A20F06
	v_readlane_b32 s82, v3, 28                                 // 000000010B2C: D2890052 00013903
	s_lshr_b32 s61, s82, 24                                    // 000000010B34: 8F3D9852
	s_and_b32 s82, s82, 0xffffff                               // 000000010B38: 8652FF52 00FFFFFF
	s_mul_i32 s82, s82, s71                                    // 000000010B40: 92524752
	s_mul_i32 s61, s60, s61                                    // 000000010B44: 923D3D3C
	s_add_u32 s82, s82, s61                                    // 000000010B48: 80523D52
	v_mul_lo_u32 v6, v5, s82                                   // 000000010B4C: D2850006 0000A505
	v_readlane_b32 s82, v3, 29                                 // 000000010B54: D2890052 00013B03
	s_lshr_b32 s61, s82, 24                                    // 000000010B5C: 8F3D9852
	s_and_b32 s82, s82, 0xffffff                               // 000000010B60: 8652FF52 00FFFFFF
	s_mul_i32 s82, s82, s71                                    // 000000010B68: 92524752
	s_mul_i32 s61, s60, s61                                    // 000000010B6C: 923D3D3C
	s_add_u32 s82, s82, s61                                    // 000000010B70: 80523D52
	v_mul_lo_u32 v7, v4, s82                                   // 000000010B74: D2850007 0000A504
	v_add_u32_e32 v82, v6, v7                                  // 000000010B7C: 68A40F06
	v_readlane_b32 s82, v3, 30                                 // 000000010B80: D2890052 00013D03
	s_lshr_b32 s61, s82, 24                                    // 000000010B88: 8F3D9852
	s_and_b32 s82, s82, 0xffffff                               // 000000010B8C: 8652FF52 00FFFFFF
	s_mul_i32 s82, s82, s71                                    // 000000010B94: 92524752
	s_mul_i32 s61, s60, s61                                    // 000000010B98: 923D3D3C
	s_add_u32 s82, s82, s61                                    // 000000010B9C: 80523D52
	v_mul_lo_u32 v6, v5, s82                                   // 000000010BA0: D2850006 0000A505
	v_readlane_b32 s82, v3, 31                                 // 000000010BA8: D2890052 00013F03
	s_lshr_b32 s61, s82, 24                                    // 000000010BB0: 8F3D9852
	s_and_b32 s82, s82, 0xffffff                               // 000000010BB4: 8652FF52 00FFFFFF
	s_mul_i32 s82, s82, s71                                    // 000000010BBC: 92524752
	s_mul_i32 s61, s60, s61                                    // 000000010BC0: 923D3D3C
	s_add_u32 s82, s82, s61                                    // 000000010BC4: 80523D52
	v_mul_lo_u32 v7, v4, s82                                   // 000000010BC8: D2850007 0000A504
	v_add_u32_e32 v83, v6, v7                                  // 000000010BD0: 68A60F06
	v_readlane_b32 s82, v3, 32                                 // 000000010BD4: D2890052 00014103
	s_lshr_b32 s61, s82, 24                                    // 000000010BDC: 8F3D9852
	s_and_b32 s82, s82, 0xffffff                               // 000000010BE0: 8652FF52 00FFFFFF
	s_mul_i32 s82, s82, s71                                    // 000000010BE8: 92524752
	s_mul_i32 s61, s60, s61                                    // 000000010BEC: 923D3D3C
	s_add_u32 s82, s82, s61                                    // 000000010BF0: 80523D52
	v_mul_lo_u32 v6, v5, s82                                   // 000000010BF4: D2850006 0000A505
	v_readlane_b32 s82, v3, 33                                 // 000000010BFC: D2890052 00014303
	s_lshr_b32 s61, s82, 24                                    // 000000010C04: 8F3D9852
	s_and_b32 s82, s82, 0xffffff                               // 000000010C08: 8652FF52 00FFFFFF
	s_mul_i32 s82, s82, s71                                    // 000000010C10: 92524752
	s_mul_i32 s61, s60, s61                                    // 000000010C14: 923D3D3C
	s_add_u32 s82, s82, s61                                    // 000000010C18: 80523D52
	v_mul_lo_u32 v7, v4, s82                                   // 000000010C1C: D2850007 0000A504
	v_add_u32_e32 v84, v6, v7                                  // 000000010C24: 68A80F06
	v_readlane_b32 s82, v3, 34                                 // 000000010C28: D2890052 00014503
	s_lshr_b32 s61, s82, 24                                    // 000000010C30: 8F3D9852
	s_and_b32 s82, s82, 0xffffff                               // 000000010C34: 8652FF52 00FFFFFF
	s_mul_i32 s82, s82, s71                                    // 000000010C3C: 92524752
	s_mul_i32 s61, s60, s61                                    // 000000010C40: 923D3D3C
	s_add_u32 s82, s82, s61                                    // 000000010C44: 80523D52
	v_mul_lo_u32 v6, v5, s82                                   // 000000010C48: D2850006 0000A505
	v_readlane_b32 s82, v3, 35                                 // 000000010C50: D2890052 00014703
	s_lshr_b32 s61, s82, 24                                    // 000000010C58: 8F3D9852
	s_and_b32 s82, s82, 0xffffff                               // 000000010C5C: 8652FF52 00FFFFFF
	s_mul_i32 s82, s82, s71                                    // 000000010C64: 92524752
	s_mul_i32 s61, s60, s61                                    // 000000010C68: 923D3D3C
	s_add_u32 s82, s82, s61                                    // 000000010C6C: 80523D52
	v_mul_lo_u32 v7, v4, s82                                   // 000000010C70: D2850007 0000A504
	v_add_u32_e32 v85, v6, v7                                  // 000000010C78: 68AA0F06
	v_readlane_b32 s82, v3, 36                                 // 000000010C7C: D2890052 00014903
	s_lshr_b32 s61, s82, 24                                    // 000000010C84: 8F3D9852
	s_and_b32 s82, s82, 0xffffff                               // 000000010C88: 8652FF52 00FFFFFF
	s_mul_i32 s82, s82, s71                                    // 000000010C90: 92524752
	s_mul_i32 s61, s60, s61                                    // 000000010C94: 923D3D3C
	s_add_u32 s82, s82, s61                                    // 000000010C98: 80523D52
	v_mul_lo_u32 v6, v5, s82                                   // 000000010C9C: D2850006 0000A505
	v_readlane_b32 s82, v3, 37                                 // 000000010CA4: D2890052 00014B03
	s_lshr_b32 s61, s82, 24                                    // 000000010CAC: 8F3D9852
	s_and_b32 s82, s82, 0xffffff                               // 000000010CB0: 8652FF52 00FFFFFF
	s_mul_i32 s82, s82, s71                                    // 000000010CB8: 92524752
	s_mul_i32 s61, s60, s61                                    // 000000010CBC: 923D3D3C
	s_add_u32 s82, s82, s61                                    // 000000010CC0: 80523D52
	v_mul_lo_u32 v7, v4, s82                                   // 000000010CC4: D2850007 0000A504
	v_add_u32_e32 v86, v6, v7                                  // 000000010CCC: 68AC0F06
	v_readlane_b32 s82, v3, 38                                 // 000000010CD0: D2890052 00014D03
	s_lshr_b32 s61, s82, 24                                    // 000000010CD8: 8F3D9852
	s_and_b32 s82, s82, 0xffffff                               // 000000010CDC: 8652FF52 00FFFFFF
	s_mul_i32 s82, s82, s71                                    // 000000010CE4: 92524752
	s_mul_i32 s61, s60, s61                                    // 000000010CE8: 923D3D3C
	s_add_u32 s82, s82, s61                                    // 000000010CEC: 80523D52
	v_mul_lo_u32 v6, v5, s82                                   // 000000010CF0: D2850006 0000A505
	v_readlane_b32 s82, v3, 39                                 // 000000010CF8: D2890052 00014F03
	s_lshr_b32 s61, s82, 24                                    // 000000010D00: 8F3D9852
	s_and_b32 s82, s82, 0xffffff                               // 000000010D04: 8652FF52 00FFFFFF
	s_mul_i32 s82, s82, s71                                    // 000000010D0C: 92524752
	s_mul_i32 s61, s60, s61                                    // 000000010D10: 923D3D3C
	s_add_u32 s82, s82, s61                                    // 000000010D14: 80523D52
	v_mul_lo_u32 v7, v4, s82                                   // 000000010D18: D2850007 0000A504
	v_add_u32_e32 v87, v6, v7                                  // 000000010D20: 68AE0F06
	v_and_b32_e32 v4, 31, v0                                   // 000000010D24: 2608009F
	v_lshrrev_b32_e32 v4, 1, v4                                // 000000010D28: 20080881
	s_cmp_eq_u32 s88, 0                                        // 000000010D2C: BF068058
	s_cselect_b32 s61, 2, 4                                    // 000000010D30: 853D8482
	v_mul_lo_u32 v4, v4, s61                                   // 000000010D34: D2850004 00007B04
	v_and_b32_e64 v5, v0, 1                                    // 000000010D3C: D1130005 00010300
	v_add_u32_e32 v4, v4, v5                                   // 000000010D44: 68080B04
	v_lshlrev_b32_e32 v4, 2, v4                                // 000000010D48: 24080882
	v_add_u32_e32 v68, v68, v4                                 // 000000010D4C: 68880944
	v_add_u32_e32 v69, v69, v4                                 // 000000010D50: 688A0945
	v_add_u32_e32 v70, v70, v4                                 // 000000010D54: 688C0946
	v_add_u32_e32 v71, v71, v4                                 // 000000010D58: 688E0947
	v_add_u32_e32 v72, v72, v4                                 // 000000010D5C: 68900948
	v_add_u32_e32 v73, v73, v4                                 // 000000010D60: 68920949
	v_add_u32_e32 v74, v74, v4                                 // 000000010D64: 6894094A
	v_add_u32_e32 v75, v75, v4                                 // 000000010D68: 6896094B
	v_add_u32_e32 v76, v76, v4                                 // 000000010D6C: 6898094C
	v_add_u32_e32 v77, v77, v4                                 // 000000010D70: 689A094D
	v_add_u32_e32 v78, v78, v4                                 // 000000010D74: 689C094E
	v_add_u32_e32 v79, v79, v4                                 // 000000010D78: 689E094F
	v_add_u32_e32 v80, v80, v4                                 // 000000010D7C: 68A00950
	v_add_u32_e32 v81, v81, v4                                 // 000000010D80: 68A20951
	v_add_u32_e32 v82, v82, v4                                 // 000000010D84: 68A40952
	v_add_u32_e32 v83, v83, v4                                 // 000000010D88: 68A60953
	v_add_u32_e32 v84, v84, v4                                 // 000000010D8C: 68A80954
	v_add_u32_e32 v85, v85, v4                                 // 000000010D90: 68AA0955
	v_add_u32_e32 v86, v86, v4                                 // 000000010D94: 68AC0956
	v_add_u32_e32 v87, v87, v4                                 // 000000010D98: 68AE0957
	s_waitcnt lgkmcnt(0)                                       // 000000010D9C: BF8CC07F
	s_barrier                                                  // 000000010DA0: BF8A0000
	ds_read_b32 v92, v21                                       // 000000010DA4: D86C0000 5C000015
	ds_read_b32 v93, v21 offset:64                             // 000000010DAC: D86C0040 5D000015
	ds_read_b32 v96, v21 offset:2176                           // 000000010DB4: D86C0880 60000015
	ds_read_b32 v97, v21 offset:2240                           // 000000010DBC: D86C08C0 61000015
	ds_read_b32 v100, v21 offset:4352                          // 000000010DC4: D86C1100 64000015
	ds_read_b32 v101, v21 offset:4416                          // 000000010DCC: D86C1140 65000015
	ds_read_b32 v104, v21 offset:6528                          // 000000010DD4: D86C1980 68000015
	ds_read_b32 v105, v21 offset:6592                          // 000000010DDC: D86C19C0 69000015
	ds_read_b32 v108, v21 offset:8704                          // 000000010DE4: D86C2200 6C000015
	ds_read_b32 v109, v21 offset:8768                          // 000000010DEC: D86C2240 6D000015
	ds_read_b32 v112, v21 offset:10880                         // 000000010DF4: D86C2A80 70000015
	ds_read_b32 v113, v21 offset:10944                         // 000000010DFC: D86C2AC0 71000015
	ds_read_b32 v116, v21 offset:13056                         // 000000010E04: D86C3300 74000015
	ds_read_b32 v117, v21 offset:13120                         // 000000010E0C: D86C3340 75000015
	ds_read_b32 v120, v21 offset:15232                         // 000000010E14: D86C3B80 78000015
	ds_read_b32 v121, v21 offset:15296                         // 000000010E1C: D86C3BC0 79000015
	ds_read_b32 v124, v21 offset:17408                         // 000000010E24: D86C4400 7C000015
	ds_read_b32 v125, v21 offset:17472                         // 000000010E2C: D86C4440 7D000015
	ds_read_b32 v128, v21 offset:19584                         // 000000010E34: D86C4C80 80000015
	ds_read_b32 v129, v21 offset:19648                         // 000000010E3C: D86C4CC0 81000015
	ds_read_b32 v132, v21 offset:21760                         // 000000010E44: D86C5500 84000015
	ds_read_b32 v133, v21 offset:21824                         // 000000010E4C: D86C5540 85000015
	ds_read_b32 v136, v21 offset:23936                         // 000000010E54: D86C5D80 88000015
	ds_read_b32 v137, v21 offset:24000                         // 000000010E5C: D86C5DC0 89000015
	ds_read_b32 v140, v21 offset:26112                         // 000000010E64: D86C6600 8C000015
	ds_read_b32 v141, v21 offset:26176                         // 000000010E6C: D86C6640 8D000015
	ds_read_b32 v144, v21 offset:28288                         // 000000010E74: D86C6E80 90000015
	ds_read_b32 v145, v21 offset:28352                         // 000000010E7C: D86C6EC0 91000015
	ds_read_b32 v148, v21 offset:30464                         // 000000010E84: D86C7700 94000015
	ds_read_b32 v149, v21 offset:30528                         // 000000010E8C: D86C7740 95000015
	ds_read_b32 v152, v21 offset:32640                         // 000000010E94: D86C7F80 98000015
	ds_read_b32 v153, v21 offset:32704                         // 000000010E9C: D86C7FC0 99000015
	ds_read_b32 v156, v21 offset:34816                         // 000000010EA4: D86C8800 9C000015
	ds_read_b32 v157, v21 offset:34880                         // 000000010EAC: D86C8840 9D000015
	ds_read_b32 v160, v21 offset:36992                         // 000000010EB4: D86C9080 A0000015
	ds_read_b32 v161, v21 offset:37056                         // 000000010EBC: D86C90C0 A1000015
	ds_read_b32 v164, v21 offset:39168                         // 000000010EC4: D86C9900 A4000015
	ds_read_b32 v165, v21 offset:39232                         // 000000010ECC: D86C9940 A5000015
	ds_read_b32 v168, v21 offset:41344                         // 000000010ED4: D86CA180 A8000015
	ds_read_b32 v169, v21 offset:41408                         // 000000010EDC: D86CA1C0 A9000015
	s_waitcnt lgkmcnt(0)                                       // 000000010EE4: BF8CC07F
	s_mov_b32 s36, -1                                          // 000000010EE8: BEA400C1
	s_mov_b32 s37, -1                                          // 000000010EEC: BEA500C1
	v_mov_b32_e32 v7, 0                                        // 000000010EF0: 7E0E0280
	s_mov_b64 exec, s[36:37]                                   // 000000010EF4: BEFE0124
	v_mov_b32_e32 v6, v68                                      // 000000010EF8: 7E0C0344
	s_mov_b64 s[60:61], 0                                      // 000000010EFC: BEBC0180
	v_readlane_b32 s82, v3, 0                                  // 000000010F00: D2890052 00010103
	s_and_b32 s82, s82, 0xffffff                               // 000000010F08: 8652FF52 00FFFFFF
	s_cmp_lt_u32 s82, s66                                      // 000000010F10: BF0A4252
	s_cselect_b32 s20, s36, s60                                // 000000010F14: 85143C24
	v_readlane_b32 s82, v3, 1                                  // 000000010F18: D2890052 00010303
	s_and_b32 s82, s82, 0xffffff                               // 000000010F20: 8652FF52 00FFFFFF
	s_cmp_lt_u32 s82, s66                                      // 000000010F28: BF0A4252
	s_cselect_b32 s21, s36, s60                                // 000000010F2C: 85153C24
	s_mov_b64 exec, s[20:21]                                   // 000000010F30: BEFE0114
	global_atomic_add_f32 v6, v92, s[8:9]                      // 000000010F34: DD348000 00085C06
	global_atomic_add_f32 v6, v96, s[8:9] offset:256           // 000000010F3C: DD348100 00086006
	s_mov_b64 exec, s[36:37]                                   // 000000010F44: BEFE0124
	v_mov_b32_e32 v6, v69                                      // 000000010F48: 7E0C0345
	s_mov_b64 s[60:61], 0                                      // 000000010F4C: BEBC0180
	v_readlane_b32 s82, v3, 2                                  // 000000010F50: D2890052 00010503
	s_and_b32 s82, s82, 0xffffff                               // 000000010F58: 8652FF52 00FFFFFF
	s_cmp_lt_u32 s82, s66                                      // 000000010F60: BF0A4252
	s_cselect_b32 s20, s36, s60                                // 000000010F64: 85143C24
	v_readlane_b32 s82, v3, 3                                  // 000000010F68: D2890052 00010703
	s_and_b32 s82, s82, 0xffffff                               // 000000010F70: 8652FF52 00FFFFFF
	s_cmp_lt_u32 s82, s66                                      // 000000010F78: BF0A4252
	s_cselect_b32 s21, s36, s60                                // 000000010F7C: 85153C24
	s_mov_b64 exec, s[20:21]                                   // 000000010F80: BEFE0114
	global_atomic_add_f32 v6, v93, s[8:9]                      // 000000010F84: DD348000 00085D06
	global_atomic_add_f32 v6, v97, s[8:9] offset:256           // 000000010F8C: DD348100 00086106
	s_mov_b64 exec, s[36:37]                                   // 000000010F94: BEFE0124
	v_mov_b32_e32 v6, v70                                      // 000000010F98: 7E0C0346
	s_mov_b64 s[60:61], 0                                      // 000000010F9C: BEBC0180
	v_readlane_b32 s82, v3, 4                                  // 000000010FA0: D2890052 00010903
	s_and_b32 s82, s82, 0xffffff                               // 000000010FA8: 8652FF52 00FFFFFF
	s_cmp_lt_u32 s82, s66                                      // 000000010FB0: BF0A4252
	s_cselect_b32 s20, s36, s60                                // 000000010FB4: 85143C24
	v_readlane_b32 s82, v3, 5                                  // 000000010FB8: D2890052 00010B03
	s_and_b32 s82, s82, 0xffffff                               // 000000010FC0: 8652FF52 00FFFFFF
	s_cmp_lt_u32 s82, s66                                      // 000000010FC8: BF0A4252
	s_cselect_b32 s21, s36, s60                                // 000000010FCC: 85153C24
	s_mov_b64 exec, s[20:21]                                   // 000000010FD0: BEFE0114
	global_atomic_add_f32 v6, v100, s[8:9]                     // 000000010FD4: DD348000 00086406
	global_atomic_add_f32 v6, v104, s[8:9] offset:256          // 000000010FDC: DD348100 00086806
	s_mov_b64 exec, s[36:37]                                   // 000000010FE4: BEFE0124
	v_mov_b32_e32 v6, v71                                      // 000000010FE8: 7E0C0347
	s_mov_b64 s[60:61], 0                                      // 000000010FEC: BEBC0180
	v_readlane_b32 s82, v3, 6                                  // 000000010FF0: D2890052 00010D03
	s_and_b32 s82, s82, 0xffffff                               // 000000010FF8: 8652FF52 00FFFFFF
	s_cmp_lt_u32 s82, s66                                      // 000000011000: BF0A4252
	s_cselect_b32 s20, s36, s60                                // 000000011004: 85143C24
	v_readlane_b32 s82, v3, 7                                  // 000000011008: D2890052 00010F03
	s_and_b32 s82, s82, 0xffffff                               // 000000011010: 8652FF52 00FFFFFF
	s_cmp_lt_u32 s82, s66                                      // 000000011018: BF0A4252
	s_cselect_b32 s21, s36, s60                                // 00000001101C: 85153C24
	s_mov_b64 exec, s[20:21]                                   // 000000011020: BEFE0114
	global_atomic_add_f32 v6, v101, s[8:9]                     // 000000011024: DD348000 00086506
	global_atomic_add_f32 v6, v105, s[8:9] offset:256          // 00000001102C: DD348100 00086906
	s_mov_b64 exec, s[36:37]                                   // 000000011034: BEFE0124
	v_mov_b32_e32 v6, v72                                      // 000000011038: 7E0C0348
	s_mov_b64 s[60:61], 0                                      // 00000001103C: BEBC0180
	v_readlane_b32 s82, v3, 8                                  // 000000011040: D2890052 00011103
	s_and_b32 s82, s82, 0xffffff                               // 000000011048: 8652FF52 00FFFFFF
	s_cmp_lt_u32 s82, s66                                      // 000000011050: BF0A4252
	s_cselect_b32 s20, s36, s60                                // 000000011054: 85143C24
	v_readlane_b32 s82, v3, 9                                  // 000000011058: D2890052 00011303
	s_and_b32 s82, s82, 0xffffff                               // 000000011060: 8652FF52 00FFFFFF
	s_cmp_lt_u32 s82, s66                                      // 000000011068: BF0A4252
	s_cselect_b32 s21, s36, s60                                // 00000001106C: 85153C24
	s_mov_b64 exec, s[20:21]                                   // 000000011070: BEFE0114
	global_atomic_add_f32 v6, v108, s[8:9]                     // 000000011074: DD348000 00086C06
	global_atomic_add_f32 v6, v112, s[8:9] offset:256          // 00000001107C: DD348100 00087006
	s_mov_b64 exec, s[36:37]                                   // 000000011084: BEFE0124
	v_mov_b32_e32 v6, v73                                      // 000000011088: 7E0C0349
	s_mov_b64 s[60:61], 0                                      // 00000001108C: BEBC0180
	v_readlane_b32 s82, v3, 10                                 // 000000011090: D2890052 00011503
	s_and_b32 s82, s82, 0xffffff                               // 000000011098: 8652FF52 00FFFFFF
	s_cmp_lt_u32 s82, s66                                      // 0000000110A0: BF0A4252
	s_cselect_b32 s20, s36, s60                                // 0000000110A4: 85143C24
	v_readlane_b32 s82, v3, 11                                 // 0000000110A8: D2890052 00011703
	s_and_b32 s82, s82, 0xffffff                               // 0000000110B0: 8652FF52 00FFFFFF
	s_cmp_lt_u32 s82, s66                                      // 0000000110B8: BF0A4252
	s_cselect_b32 s21, s36, s60                                // 0000000110BC: 85153C24
	s_mov_b64 exec, s[20:21]                                   // 0000000110C0: BEFE0114
	global_atomic_add_f32 v6, v109, s[8:9]                     // 0000000110C4: DD348000 00086D06
	global_atomic_add_f32 v6, v113, s[8:9] offset:256          // 0000000110CC: DD348100 00087106
	s_mov_b64 exec, s[36:37]                                   // 0000000110D4: BEFE0124
	v_mov_b32_e32 v6, v74                                      // 0000000110D8: 7E0C034A
	s_mov_b64 s[60:61], 0                                      // 0000000110DC: BEBC0180
	v_readlane_b32 s82, v3, 12                                 // 0000000110E0: D2890052 00011903
	s_and_b32 s82, s82, 0xffffff                               // 0000000110E8: 8652FF52 00FFFFFF
	s_cmp_lt_u32 s82, s66                                      // 0000000110F0: BF0A4252
	s_cselect_b32 s20, s36, s60                                // 0000000110F4: 85143C24
	v_readlane_b32 s82, v3, 13                                 // 0000000110F8: D2890052 00011B03
	s_and_b32 s82, s82, 0xffffff                               // 000000011100: 8652FF52 00FFFFFF
	s_cmp_lt_u32 s82, s66                                      // 000000011108: BF0A4252
	s_cselect_b32 s21, s36, s60                                // 00000001110C: 85153C24
	s_mov_b64 exec, s[20:21]                                   // 000000011110: BEFE0114
	global_atomic_add_f32 v6, v116, s[8:9]                     // 000000011114: DD348000 00087406
	global_atomic_add_f32 v6, v120, s[8:9] offset:256          // 00000001111C: DD348100 00087806
	s_mov_b64 exec, s[36:37]                                   // 000000011124: BEFE0124
	v_mov_b32_e32 v6, v75                                      // 000000011128: 7E0C034B
	s_mov_b64 s[60:61], 0                                      // 00000001112C: BEBC0180
	v_readlane_b32 s82, v3, 14                                 // 000000011130: D2890052 00011D03
	s_and_b32 s82, s82, 0xffffff                               // 000000011138: 8652FF52 00FFFFFF
	s_cmp_lt_u32 s82, s66                                      // 000000011140: BF0A4252
	s_cselect_b32 s20, s36, s60                                // 000000011144: 85143C24
	v_readlane_b32 s82, v3, 15                                 // 000000011148: D2890052 00011F03
	s_and_b32 s82, s82, 0xffffff                               // 000000011150: 8652FF52 00FFFFFF
	s_cmp_lt_u32 s82, s66                                      // 000000011158: BF0A4252
	s_cselect_b32 s21, s36, s60                                // 00000001115C: 85153C24
	s_mov_b64 exec, s[20:21]                                   // 000000011160: BEFE0114
	global_atomic_add_f32 v6, v117, s[8:9]                     // 000000011164: DD348000 00087506
	global_atomic_add_f32 v6, v121, s[8:9] offset:256          // 00000001116C: DD348100 00087906
	s_mov_b64 exec, s[36:37]                                   // 000000011174: BEFE0124
	v_mov_b32_e32 v6, v76                                      // 000000011178: 7E0C034C
	s_mov_b64 s[60:61], 0                                      // 00000001117C: BEBC0180
	v_readlane_b32 s82, v3, 16                                 // 000000011180: D2890052 00012103
	s_and_b32 s82, s82, 0xffffff                               // 000000011188: 8652FF52 00FFFFFF
	s_cmp_lt_u32 s82, s66                                      // 000000011190: BF0A4252
	s_cselect_b32 s20, s36, s60                                // 000000011194: 85143C24
	v_readlane_b32 s82, v3, 17                                 // 000000011198: D2890052 00012303
	s_and_b32 s82, s82, 0xffffff                               // 0000000111A0: 8652FF52 00FFFFFF
	s_cmp_lt_u32 s82, s66                                      // 0000000111A8: BF0A4252
	s_cselect_b32 s21, s36, s60                                // 0000000111AC: 85153C24
	s_mov_b64 exec, s[20:21]                                   // 0000000111B0: BEFE0114
	global_atomic_add_f32 v6, v124, s[8:9]                     // 0000000111B4: DD348000 00087C06
	global_atomic_add_f32 v6, v128, s[8:9] offset:256          // 0000000111BC: DD348100 00088006
	s_mov_b64 exec, s[36:37]                                   // 0000000111C4: BEFE0124
	v_mov_b32_e32 v6, v77                                      // 0000000111C8: 7E0C034D
	s_mov_b64 s[60:61], 0                                      // 0000000111CC: BEBC0180
	v_readlane_b32 s82, v3, 18                                 // 0000000111D0: D2890052 00012503
	s_and_b32 s82, s82, 0xffffff                               // 0000000111D8: 8652FF52 00FFFFFF
	s_cmp_lt_u32 s82, s66                                      // 0000000111E0: BF0A4252
	s_cselect_b32 s20, s36, s60                                // 0000000111E4: 85143C24
	v_readlane_b32 s82, v3, 19                                 // 0000000111E8: D2890052 00012703
	s_and_b32 s82, s82, 0xffffff                               // 0000000111F0: 8652FF52 00FFFFFF
	s_cmp_lt_u32 s82, s66                                      // 0000000111F8: BF0A4252
	s_cselect_b32 s21, s36, s60                                // 0000000111FC: 85153C24
	s_mov_b64 exec, s[20:21]                                   // 000000011200: BEFE0114
	global_atomic_add_f32 v6, v125, s[8:9]                     // 000000011204: DD348000 00087D06
	global_atomic_add_f32 v6, v129, s[8:9] offset:256          // 00000001120C: DD348100 00088106
	s_mov_b64 exec, s[36:37]                                   // 000000011214: BEFE0124
	v_mov_b32_e32 v6, v78                                      // 000000011218: 7E0C034E
	s_mov_b64 s[60:61], 0                                      // 00000001121C: BEBC0180
	v_readlane_b32 s82, v3, 20                                 // 000000011220: D2890052 00012903
	s_and_b32 s82, s82, 0xffffff                               // 000000011228: 8652FF52 00FFFFFF
	s_cmp_lt_u32 s82, s66                                      // 000000011230: BF0A4252
	s_cselect_b32 s20, s36, s60                                // 000000011234: 85143C24
	v_readlane_b32 s82, v3, 21                                 // 000000011238: D2890052 00012B03
	s_and_b32 s82, s82, 0xffffff                               // 000000011240: 8652FF52 00FFFFFF
	s_cmp_lt_u32 s82, s66                                      // 000000011248: BF0A4252
	s_cselect_b32 s21, s36, s60                                // 00000001124C: 85153C24
	s_mov_b64 exec, s[20:21]                                   // 000000011250: BEFE0114
	global_atomic_add_f32 v6, v132, s[8:9]                     // 000000011254: DD348000 00088406
	global_atomic_add_f32 v6, v136, s[8:9] offset:256          // 00000001125C: DD348100 00088806
	s_mov_b64 exec, s[36:37]                                   // 000000011264: BEFE0124
	v_mov_b32_e32 v6, v79                                      // 000000011268: 7E0C034F
	s_mov_b64 s[60:61], 0                                      // 00000001126C: BEBC0180
	v_readlane_b32 s82, v3, 22                                 // 000000011270: D2890052 00012D03
	s_and_b32 s82, s82, 0xffffff                               // 000000011278: 8652FF52 00FFFFFF
	s_cmp_lt_u32 s82, s66                                      // 000000011280: BF0A4252
	s_cselect_b32 s20, s36, s60                                // 000000011284: 85143C24
	v_readlane_b32 s82, v3, 23                                 // 000000011288: D2890052 00012F03
	s_and_b32 s82, s82, 0xffffff                               // 000000011290: 8652FF52 00FFFFFF
	s_cmp_lt_u32 s82, s66                                      // 000000011298: BF0A4252
	s_cselect_b32 s21, s36, s60                                // 00000001129C: 85153C24
	s_mov_b64 exec, s[20:21]                                   // 0000000112A0: BEFE0114
	global_atomic_add_f32 v6, v133, s[8:9]                     // 0000000112A4: DD348000 00088506
	global_atomic_add_f32 v6, v137, s[8:9] offset:256          // 0000000112AC: DD348100 00088906
	s_mov_b64 exec, s[36:37]                                   // 0000000112B4: BEFE0124
	v_mov_b32_e32 v6, v80                                      // 0000000112B8: 7E0C0350
	s_mov_b64 s[60:61], 0                                      // 0000000112BC: BEBC0180
	v_readlane_b32 s82, v3, 24                                 // 0000000112C0: D2890052 00013103
	s_and_b32 s82, s82, 0xffffff                               // 0000000112C8: 8652FF52 00FFFFFF
	s_cmp_lt_u32 s82, s66                                      // 0000000112D0: BF0A4252
	s_cselect_b32 s20, s36, s60                                // 0000000112D4: 85143C24
	v_readlane_b32 s82, v3, 25                                 // 0000000112D8: D2890052 00013303
	s_and_b32 s82, s82, 0xffffff                               // 0000000112E0: 8652FF52 00FFFFFF
	s_cmp_lt_u32 s82, s66                                      // 0000000112E8: BF0A4252
	s_cselect_b32 s21, s36, s60                                // 0000000112EC: 85153C24
	s_mov_b64 exec, s[20:21]                                   // 0000000112F0: BEFE0114
	global_atomic_add_f32 v6, v140, s[8:9]                     // 0000000112F4: DD348000 00088C06
	global_atomic_add_f32 v6, v144, s[8:9] offset:256          // 0000000112FC: DD348100 00089006
	s_mov_b64 exec, s[36:37]                                   // 000000011304: BEFE0124
	v_mov_b32_e32 v6, v81                                      // 000000011308: 7E0C0351
	s_mov_b64 s[60:61], 0                                      // 00000001130C: BEBC0180
	v_readlane_b32 s82, v3, 26                                 // 000000011310: D2890052 00013503
	s_and_b32 s82, s82, 0xffffff                               // 000000011318: 8652FF52 00FFFFFF
	s_cmp_lt_u32 s82, s66                                      // 000000011320: BF0A4252
	s_cselect_b32 s20, s36, s60                                // 000000011324: 85143C24
	v_readlane_b32 s82, v3, 27                                 // 000000011328: D2890052 00013703
	s_and_b32 s82, s82, 0xffffff                               // 000000011330: 8652FF52 00FFFFFF
	s_cmp_lt_u32 s82, s66                                      // 000000011338: BF0A4252
	s_cselect_b32 s21, s36, s60                                // 00000001133C: 85153C24
	s_mov_b64 exec, s[20:21]                                   // 000000011340: BEFE0114
	global_atomic_add_f32 v6, v141, s[8:9]                     // 000000011344: DD348000 00088D06
	global_atomic_add_f32 v6, v145, s[8:9] offset:256          // 00000001134C: DD348100 00089106
	s_mov_b64 exec, s[36:37]                                   // 000000011354: BEFE0124
	v_mov_b32_e32 v6, v82                                      // 000000011358: 7E0C0352
	s_mov_b64 s[60:61], 0                                      // 00000001135C: BEBC0180
	v_readlane_b32 s82, v3, 28                                 // 000000011360: D2890052 00013903
	s_and_b32 s82, s82, 0xffffff                               // 000000011368: 8652FF52 00FFFFFF
	s_cmp_lt_u32 s82, s66                                      // 000000011370: BF0A4252
	s_cselect_b32 s20, s36, s60                                // 000000011374: 85143C24
	v_readlane_b32 s82, v3, 29                                 // 000000011378: D2890052 00013B03
	s_and_b32 s82, s82, 0xffffff                               // 000000011380: 8652FF52 00FFFFFF
	s_cmp_lt_u32 s82, s66                                      // 000000011388: BF0A4252
	s_cselect_b32 s21, s36, s60                                // 00000001138C: 85153C24
	s_mov_b64 exec, s[20:21]                                   // 000000011390: BEFE0114
	global_atomic_add_f32 v6, v148, s[8:9]                     // 000000011394: DD348000 00089406
	global_atomic_add_f32 v6, v152, s[8:9] offset:256          // 00000001139C: DD348100 00089806
	s_mov_b64 exec, s[36:37]                                   // 0000000113A4: BEFE0124
	v_mov_b32_e32 v6, v83                                      // 0000000113A8: 7E0C0353
	s_mov_b64 s[60:61], 0                                      // 0000000113AC: BEBC0180
	v_readlane_b32 s82, v3, 30                                 // 0000000113B0: D2890052 00013D03
	s_and_b32 s82, s82, 0xffffff                               // 0000000113B8: 8652FF52 00FFFFFF
	s_cmp_lt_u32 s82, s66                                      // 0000000113C0: BF0A4252
	s_cselect_b32 s20, s36, s60                                // 0000000113C4: 85143C24
	v_readlane_b32 s82, v3, 31                                 // 0000000113C8: D2890052 00013F03
	s_and_b32 s82, s82, 0xffffff                               // 0000000113D0: 8652FF52 00FFFFFF
	s_cmp_lt_u32 s82, s66                                      // 0000000113D8: BF0A4252
	s_cselect_b32 s21, s36, s60                                // 0000000113DC: 85153C24
	s_mov_b64 exec, s[20:21]                                   // 0000000113E0: BEFE0114
	global_atomic_add_f32 v6, v149, s[8:9]                     // 0000000113E4: DD348000 00089506
	global_atomic_add_f32 v6, v153, s[8:9] offset:256          // 0000000113EC: DD348100 00089906
	s_mov_b64 exec, s[36:37]                                   // 0000000113F4: BEFE0124
	v_mov_b32_e32 v6, v84                                      // 0000000113F8: 7E0C0354
	s_mov_b64 s[60:61], 0                                      // 0000000113FC: BEBC0180
	v_readlane_b32 s82, v3, 32                                 // 000000011400: D2890052 00014103
	s_and_b32 s82, s82, 0xffffff                               // 000000011408: 8652FF52 00FFFFFF
	s_cmp_lt_u32 s82, s66                                      // 000000011410: BF0A4252
	s_cselect_b32 s20, s36, s60                                // 000000011414: 85143C24
	v_readlane_b32 s82, v3, 33                                 // 000000011418: D2890052 00014303
	s_and_b32 s82, s82, 0xffffff                               // 000000011420: 8652FF52 00FFFFFF
	s_cmp_lt_u32 s82, s66                                      // 000000011428: BF0A4252
	s_cselect_b32 s21, s36, s60                                // 00000001142C: 85153C24
	s_mov_b64 exec, s[20:21]                                   // 000000011430: BEFE0114
	global_atomic_add_f32 v6, v156, s[8:9]                     // 000000011434: DD348000 00089C06
	global_atomic_add_f32 v6, v160, s[8:9] offset:256          // 00000001143C: DD348100 0008A006
	s_mov_b64 exec, s[36:37]                                   // 000000011444: BEFE0124
	v_mov_b32_e32 v6, v85                                      // 000000011448: 7E0C0355
	s_mov_b64 s[60:61], 0                                      // 00000001144C: BEBC0180
	v_readlane_b32 s82, v3, 34                                 // 000000011450: D2890052 00014503
	s_and_b32 s82, s82, 0xffffff                               // 000000011458: 8652FF52 00FFFFFF
	s_cmp_lt_u32 s82, s66                                      // 000000011460: BF0A4252
	s_cselect_b32 s20, s36, s60                                // 000000011464: 85143C24
	v_readlane_b32 s82, v3, 35                                 // 000000011468: D2890052 00014703
	s_and_b32 s82, s82, 0xffffff                               // 000000011470: 8652FF52 00FFFFFF
	s_cmp_lt_u32 s82, s66                                      // 000000011478: BF0A4252
	s_cselect_b32 s21, s36, s60                                // 00000001147C: 85153C24
	s_mov_b64 exec, s[20:21]                                   // 000000011480: BEFE0114
	global_atomic_add_f32 v6, v157, s[8:9]                     // 000000011484: DD348000 00089D06
	global_atomic_add_f32 v6, v161, s[8:9] offset:256          // 00000001148C: DD348100 0008A106
	s_mov_b64 exec, s[36:37]                                   // 000000011494: BEFE0124
	v_mov_b32_e32 v6, v86                                      // 000000011498: 7E0C0356
	s_mov_b64 s[60:61], 0                                      // 00000001149C: BEBC0180
	v_readlane_b32 s82, v3, 36                                 // 0000000114A0: D2890052 00014903
	s_and_b32 s82, s82, 0xffffff                               // 0000000114A8: 8652FF52 00FFFFFF
	s_cmp_lt_u32 s82, s66                                      // 0000000114B0: BF0A4252
	s_cselect_b32 s20, s36, s60                                // 0000000114B4: 85143C24
	v_readlane_b32 s82, v3, 37                                 // 0000000114B8: D2890052 00014B03
	s_and_b32 s82, s82, 0xffffff                               // 0000000114C0: 8652FF52 00FFFFFF
	s_cmp_lt_u32 s82, s66                                      // 0000000114C8: BF0A4252
	s_cselect_b32 s21, s36, s60                                // 0000000114CC: 85153C24
	s_mov_b64 exec, s[20:21]                                   // 0000000114D0: BEFE0114
	global_atomic_add_f32 v6, v164, s[8:9]                     // 0000000114D4: DD348000 0008A406
	global_atomic_add_f32 v6, v168, s[8:9] offset:256          // 0000000114DC: DD348100 0008A806
	s_mov_b64 exec, s[36:37]                                   // 0000000114E4: BEFE0124
	v_mov_b32_e32 v6, v87                                      // 0000000114E8: 7E0C0357
	s_mov_b64 s[60:61], 0                                      // 0000000114EC: BEBC0180
	v_readlane_b32 s82, v3, 38                                 // 0000000114F0: D2890052 00014D03
	s_and_b32 s82, s82, 0xffffff                               // 0000000114F8: 8652FF52 00FFFFFF
	s_cmp_lt_u32 s82, s66                                      // 000000011500: BF0A4252
	s_cselect_b32 s20, s36, s60                                // 000000011504: 85143C24
	v_readlane_b32 s82, v3, 39                                 // 000000011508: D2890052 00014F03
	s_and_b32 s82, s82, 0xffffff                               // 000000011510: 8652FF52 00FFFFFF
	s_cmp_lt_u32 s82, s66                                      // 000000011518: BF0A4252
	s_cselect_b32 s21, s36, s60                                // 00000001151C: 85153C24
	s_mov_b64 exec, s[20:21]                                   // 000000011520: BEFE0114
	global_atomic_add_f32 v6, v165, s[8:9]                     // 000000011524: DD348000 0008A506
	global_atomic_add_f32 v6, v169, s[8:9] offset:256          // 00000001152C: DD348100 0008A906
	s_mov_b64 exec, s[36:37]                                   // 000000011534: BEFE0124
	ds_write_b64 v20, v[94:95]                                 // 000000011538: D89A0000 00005E14
	ds_write_b64 v20, v[98:99] offset:4352                     // 000000011540: D89A1100 00006214
	ds_write_b64 v20, v[102:103] offset:8704                   // 000000011548: D89A2200 00006614
	ds_write_b64 v20, v[106:107] offset:13056                  // 000000011550: D89A3300 00006A14
	ds_write_b64 v20, v[110:111] offset:17408                  // 000000011558: D89A4400 00006E14
	ds_write_b64 v20, v[114:115] offset:21760                  // 000000011560: D89A5500 00007214
	ds_write_b64 v20, v[118:119] offset:26112                  // 000000011568: D89A6600 00007614
	ds_write_b64 v20, v[122:123] offset:30464                  // 000000011570: D89A7700 00007A14
	ds_write_b64 v20, v[126:127] offset:34816                  // 000000011578: D89A8800 00007E14
	ds_write_b64 v20, v[130:131] offset:39168                  // 000000011580: D89A9900 00008214
	ds_write_b64 v20, v[134:135] offset:2176                   // 000000011588: D89A0880 00008614
	ds_write_b64 v20, v[138:139] offset:6528                   // 000000011590: D89A1980 00008A14
	ds_write_b64 v20, v[142:143] offset:10880                  // 000000011598: D89A2A80 00008E14
	ds_write_b64 v20, v[146:147] offset:15232                  // 0000000115A0: D89A3B80 00009214
	ds_write_b64 v20, v[150:151] offset:19584                  // 0000000115A8: D89A4C80 00009614
	ds_write_b64 v20, v[154:155] offset:23936                  // 0000000115B0: D89A5D80 00009A14
	ds_write_b64 v20, v[158:159] offset:28288                  // 0000000115B8: D89A6E80 00009E14
	ds_write_b64 v20, v[162:163] offset:32640                  // 0000000115C0: D89A7F80 0000A214
	ds_write_b64 v20, v[166:167] offset:36992                  // 0000000115C8: D89A9080 0000A614
	ds_write_b64 v20, v[170:171] offset:41344                  // 0000000115D0: D89AA180 0000AA14
	s_waitcnt lgkmcnt(0)                                       // 0000000115D8: BF8CC07F
	s_barrier                                                  // 0000000115DC: BF8A0000
	ds_read_b32 v94, v21                                       // 0000000115E0: D86C0000 5E000015
	ds_read_b32 v95, v21 offset:64                             // 0000000115E8: D86C0040 5F000015
	ds_read_b32 v98, v21 offset:2176                           // 0000000115F0: D86C0880 62000015
	ds_read_b32 v99, v21 offset:2240                           // 0000000115F8: D86C08C0 63000015
	ds_read_b32 v102, v21 offset:4352                          // 000000011600: D86C1100 66000015
	ds_read_b32 v103, v21 offset:4416                          // 000000011608: D86C1140 67000015
	ds_read_b32 v106, v21 offset:6528                          // 000000011610: D86C1980 6A000015
	ds_read_b32 v107, v21 offset:6592                          // 000000011618: D86C19C0 6B000015
	ds_read_b32 v110, v21 offset:8704                          // 000000011620: D86C2200 6E000015
	ds_read_b32 v111, v21 offset:8768                          // 000000011628: D86C2240 6F000015
	ds_read_b32 v114, v21 offset:10880                         // 000000011630: D86C2A80 72000015
	ds_read_b32 v115, v21 offset:10944                         // 000000011638: D86C2AC0 73000015
	ds_read_b32 v118, v21 offset:13056                         // 000000011640: D86C3300 76000015
	ds_read_b32 v119, v21 offset:13120                         // 000000011648: D86C3340 77000015
	ds_read_b32 v122, v21 offset:15232                         // 000000011650: D86C3B80 7A000015
	ds_read_b32 v123, v21 offset:15296                         // 000000011658: D86C3BC0 7B000015
	ds_read_b32 v126, v21 offset:17408                         // 000000011660: D86C4400 7E000015
	ds_read_b32 v127, v21 offset:17472                         // 000000011668: D86C4440 7F000015
	ds_read_b32 v130, v21 offset:19584                         // 000000011670: D86C4C80 82000015
	ds_read_b32 v131, v21 offset:19648                         // 000000011678: D86C4CC0 83000015
	ds_read_b32 v134, v21 offset:21760                         // 000000011680: D86C5500 86000015
	ds_read_b32 v135, v21 offset:21824                         // 000000011688: D86C5540 87000015
	ds_read_b32 v138, v21 offset:23936                         // 000000011690: D86C5D80 8A000015
	ds_read_b32 v139, v21 offset:24000                         // 000000011698: D86C5DC0 8B000015
	ds_read_b32 v142, v21 offset:26112                         // 0000000116A0: D86C6600 8E000015
	ds_read_b32 v143, v21 offset:26176                         // 0000000116A8: D86C6640 8F000015
	ds_read_b32 v146, v21 offset:28288                         // 0000000116B0: D86C6E80 92000015
	ds_read_b32 v147, v21 offset:28352                         // 0000000116B8: D86C6EC0 93000015
	ds_read_b32 v150, v21 offset:30464                         // 0000000116C0: D86C7700 96000015
	ds_read_b32 v151, v21 offset:30528                         // 0000000116C8: D86C7740 97000015
	ds_read_b32 v154, v21 offset:32640                         // 0000000116D0: D86C7F80 9A000015
	ds_read_b32 v155, v21 offset:32704                         // 0000000116D8: D86C7FC0 9B000015
	ds_read_b32 v158, v21 offset:34816                         // 0000000116E0: D86C8800 9E000015
	ds_read_b32 v159, v21 offset:34880                         // 0000000116E8: D86C8840 9F000015
	ds_read_b32 v162, v21 offset:36992                         // 0000000116F0: D86C9080 A2000015
	ds_read_b32 v163, v21 offset:37056                         // 0000000116F8: D86C90C0 A3000015
	ds_read_b32 v166, v21 offset:39168                         // 000000011700: D86C9900 A6000015
	ds_read_b32 v167, v21 offset:39232                         // 000000011708: D86C9940 A7000015
	ds_read_b32 v170, v21 offset:41344                         // 000000011710: D86CA180 AA000015
	ds_read_b32 v171, v21 offset:41408                         // 000000011718: D86CA1C0 AB000015
	s_waitcnt lgkmcnt(0)                                       // 000000011720: BF8CC07F
	v_mov_b32_e32 v7, 0                                        // 000000011724: 7E0E0280
	s_mov_b64 exec, s[36:37]                                   // 000000011728: BEFE0124
	v_mov_b32_e32 v6, v68                                      // 00000001172C: 7E0C0344
	s_mov_b64 s[60:61], 0                                      // 000000011730: BEBC0180
	v_readlane_b32 s82, v3, 0                                  // 000000011734: D2890052 00010103
	s_and_b32 s82, s82, 0xffffff                               // 00000001173C: 8652FF52 00FFFFFF
	s_cmp_lt_u32 s82, s66                                      // 000000011744: BF0A4252
	s_cselect_b32 s20, s36, s60                                // 000000011748: 85143C24
	v_readlane_b32 s82, v3, 1                                  // 00000001174C: D2890052 00010303
	s_and_b32 s82, s82, 0xffffff                               // 000000011754: 8652FF52 00FFFFFF
	s_cmp_lt_u32 s82, s66                                      // 00000001175C: BF0A4252
	s_cselect_b32 s21, s36, s60                                // 000000011760: 85153C24
	s_mov_b64 exec, s[20:21]                                   // 000000011764: BEFE0114
	global_atomic_add_f32 v6, v94, s[8:9] offset:8             // 000000011768: DD348008 00085E06
	global_atomic_add_f32 v6, v98, s[8:9] offset:264           // 000000011770: DD348108 00086206
	s_mov_b64 exec, s[36:37]                                   // 000000011778: BEFE0124
	v_mov_b32_e32 v6, v69                                      // 00000001177C: 7E0C0345
	s_mov_b64 s[60:61], 0                                      // 000000011780: BEBC0180
	v_readlane_b32 s82, v3, 2                                  // 000000011784: D2890052 00010503
	s_and_b32 s82, s82, 0xffffff                               // 00000001178C: 8652FF52 00FFFFFF
	s_cmp_lt_u32 s82, s66                                      // 000000011794: BF0A4252
	s_cselect_b32 s20, s36, s60                                // 000000011798: 85143C24
	v_readlane_b32 s82, v3, 3                                  // 00000001179C: D2890052 00010703
	s_and_b32 s82, s82, 0xffffff                               // 0000000117A4: 8652FF52 00FFFFFF
	s_cmp_lt_u32 s82, s66                                      // 0000000117AC: BF0A4252
	s_cselect_b32 s21, s36, s60                                // 0000000117B0: 85153C24
	s_mov_b64 exec, s[20:21]                                   // 0000000117B4: BEFE0114
	global_atomic_add_f32 v6, v95, s[8:9] offset:8             // 0000000117B8: DD348008 00085F06
	global_atomic_add_f32 v6, v99, s[8:9] offset:264           // 0000000117C0: DD348108 00086306
	s_mov_b64 exec, s[36:37]                                   // 0000000117C8: BEFE0124
	v_mov_b32_e32 v6, v70                                      // 0000000117CC: 7E0C0346
	s_mov_b64 s[60:61], 0                                      // 0000000117D0: BEBC0180
	v_readlane_b32 s82, v3, 4                                  // 0000000117D4: D2890052 00010903
	s_and_b32 s82, s82, 0xffffff                               // 0000000117DC: 8652FF52 00FFFFFF
	s_cmp_lt_u32 s82, s66                                      // 0000000117E4: BF0A4252
	s_cselect_b32 s20, s36, s60                                // 0000000117E8: 85143C24
	v_readlane_b32 s82, v3, 5                                  // 0000000117EC: D2890052 00010B03
	s_and_b32 s82, s82, 0xffffff                               // 0000000117F4: 8652FF52 00FFFFFF
	s_cmp_lt_u32 s82, s66                                      // 0000000117FC: BF0A4252
	s_cselect_b32 s21, s36, s60                                // 000000011800: 85153C24
	s_mov_b64 exec, s[20:21]                                   // 000000011804: BEFE0114
	global_atomic_add_f32 v6, v102, s[8:9] offset:8            // 000000011808: DD348008 00086606
	global_atomic_add_f32 v6, v106, s[8:9] offset:264          // 000000011810: DD348108 00086A06
	s_mov_b64 exec, s[36:37]                                   // 000000011818: BEFE0124
	v_mov_b32_e32 v6, v71                                      // 00000001181C: 7E0C0347
	s_mov_b64 s[60:61], 0                                      // 000000011820: BEBC0180
	v_readlane_b32 s82, v3, 6                                  // 000000011824: D2890052 00010D03
	s_and_b32 s82, s82, 0xffffff                               // 00000001182C: 8652FF52 00FFFFFF
	s_cmp_lt_u32 s82, s66                                      // 000000011834: BF0A4252
	s_cselect_b32 s20, s36, s60                                // 000000011838: 85143C24
	v_readlane_b32 s82, v3, 7                                  // 00000001183C: D2890052 00010F03
	s_and_b32 s82, s82, 0xffffff                               // 000000011844: 8652FF52 00FFFFFF
	s_cmp_lt_u32 s82, s66                                      // 00000001184C: BF0A4252
	s_cselect_b32 s21, s36, s60                                // 000000011850: 85153C24
	s_mov_b64 exec, s[20:21]                                   // 000000011854: BEFE0114
	global_atomic_add_f32 v6, v103, s[8:9] offset:8            // 000000011858: DD348008 00086706
	global_atomic_add_f32 v6, v107, s[8:9] offset:264          // 000000011860: DD348108 00086B06
	s_mov_b64 exec, s[36:37]                                   // 000000011868: BEFE0124
	v_mov_b32_e32 v6, v72                                      // 00000001186C: 7E0C0348
	s_mov_b64 s[60:61], 0                                      // 000000011870: BEBC0180
	v_readlane_b32 s82, v3, 8                                  // 000000011874: D2890052 00011103
	s_and_b32 s82, s82, 0xffffff                               // 00000001187C: 8652FF52 00FFFFFF
	s_cmp_lt_u32 s82, s66                                      // 000000011884: BF0A4252
	s_cselect_b32 s20, s36, s60                                // 000000011888: 85143C24
	v_readlane_b32 s82, v3, 9                                  // 00000001188C: D2890052 00011303
	s_and_b32 s82, s82, 0xffffff                               // 000000011894: 8652FF52 00FFFFFF
	s_cmp_lt_u32 s82, s66                                      // 00000001189C: BF0A4252
	s_cselect_b32 s21, s36, s60                                // 0000000118A0: 85153C24
	s_mov_b64 exec, s[20:21]                                   // 0000000118A4: BEFE0114
	global_atomic_add_f32 v6, v110, s[8:9] offset:8            // 0000000118A8: DD348008 00086E06
	global_atomic_add_f32 v6, v114, s[8:9] offset:264          // 0000000118B0: DD348108 00087206
	s_mov_b64 exec, s[36:37]                                   // 0000000118B8: BEFE0124
	v_mov_b32_e32 v6, v73                                      // 0000000118BC: 7E0C0349
	s_mov_b64 s[60:61], 0                                      // 0000000118C0: BEBC0180
	v_readlane_b32 s82, v3, 10                                 // 0000000118C4: D2890052 00011503
	s_and_b32 s82, s82, 0xffffff                               // 0000000118CC: 8652FF52 00FFFFFF
	s_cmp_lt_u32 s82, s66                                      // 0000000118D4: BF0A4252
	s_cselect_b32 s20, s36, s60                                // 0000000118D8: 85143C24
	v_readlane_b32 s82, v3, 11                                 // 0000000118DC: D2890052 00011703
	s_and_b32 s82, s82, 0xffffff                               // 0000000118E4: 8652FF52 00FFFFFF
	s_cmp_lt_u32 s82, s66                                      // 0000000118EC: BF0A4252
	s_cselect_b32 s21, s36, s60                                // 0000000118F0: 85153C24
	s_mov_b64 exec, s[20:21]                                   // 0000000118F4: BEFE0114
	global_atomic_add_f32 v6, v111, s[8:9] offset:8            // 0000000118F8: DD348008 00086F06
	global_atomic_add_f32 v6, v115, s[8:9] offset:264          // 000000011900: DD348108 00087306
	s_mov_b64 exec, s[36:37]                                   // 000000011908: BEFE0124
	v_mov_b32_e32 v6, v74                                      // 00000001190C: 7E0C034A
	s_mov_b64 s[60:61], 0                                      // 000000011910: BEBC0180
	v_readlane_b32 s82, v3, 12                                 // 000000011914: D2890052 00011903
	s_and_b32 s82, s82, 0xffffff                               // 00000001191C: 8652FF52 00FFFFFF
	s_cmp_lt_u32 s82, s66                                      // 000000011924: BF0A4252
	s_cselect_b32 s20, s36, s60                                // 000000011928: 85143C24
	v_readlane_b32 s82, v3, 13                                 // 00000001192C: D2890052 00011B03
	s_and_b32 s82, s82, 0xffffff                               // 000000011934: 8652FF52 00FFFFFF
	s_cmp_lt_u32 s82, s66                                      // 00000001193C: BF0A4252
	s_cselect_b32 s21, s36, s60                                // 000000011940: 85153C24
	s_mov_b64 exec, s[20:21]                                   // 000000011944: BEFE0114
	global_atomic_add_f32 v6, v118, s[8:9] offset:8            // 000000011948: DD348008 00087606
	global_atomic_add_f32 v6, v122, s[8:9] offset:264          // 000000011950: DD348108 00087A06
	s_mov_b64 exec, s[36:37]                                   // 000000011958: BEFE0124
	v_mov_b32_e32 v6, v75                                      // 00000001195C: 7E0C034B
	s_mov_b64 s[60:61], 0                                      // 000000011960: BEBC0180
	v_readlane_b32 s82, v3, 14                                 // 000000011964: D2890052 00011D03
	s_and_b32 s82, s82, 0xffffff                               // 00000001196C: 8652FF52 00FFFFFF
	s_cmp_lt_u32 s82, s66                                      // 000000011974: BF0A4252
	s_cselect_b32 s20, s36, s60                                // 000000011978: 85143C24
	v_readlane_b32 s82, v3, 15                                 // 00000001197C: D2890052 00011F03
	s_and_b32 s82, s82, 0xffffff                               // 000000011984: 8652FF52 00FFFFFF
	s_cmp_lt_u32 s82, s66                                      // 00000001198C: BF0A4252
	s_cselect_b32 s21, s36, s60                                // 000000011990: 85153C24
	s_mov_b64 exec, s[20:21]                                   // 000000011994: BEFE0114
	global_atomic_add_f32 v6, v119, s[8:9] offset:8            // 000000011998: DD348008 00087706
	global_atomic_add_f32 v6, v123, s[8:9] offset:264          // 0000000119A0: DD348108 00087B06
	s_mov_b64 exec, s[36:37]                                   // 0000000119A8: BEFE0124
	v_mov_b32_e32 v6, v76                                      // 0000000119AC: 7E0C034C
	s_mov_b64 s[60:61], 0                                      // 0000000119B0: BEBC0180
	v_readlane_b32 s82, v3, 16                                 // 0000000119B4: D2890052 00012103
	s_and_b32 s82, s82, 0xffffff                               // 0000000119BC: 8652FF52 00FFFFFF
	s_cmp_lt_u32 s82, s66                                      // 0000000119C4: BF0A4252
	s_cselect_b32 s20, s36, s60                                // 0000000119C8: 85143C24
	v_readlane_b32 s82, v3, 17                                 // 0000000119CC: D2890052 00012303
	s_and_b32 s82, s82, 0xffffff                               // 0000000119D4: 8652FF52 00FFFFFF
	s_cmp_lt_u32 s82, s66                                      // 0000000119DC: BF0A4252
	s_cselect_b32 s21, s36, s60                                // 0000000119E0: 85153C24
	s_mov_b64 exec, s[20:21]                                   // 0000000119E4: BEFE0114
	global_atomic_add_f32 v6, v126, s[8:9] offset:8            // 0000000119E8: DD348008 00087E06
	global_atomic_add_f32 v6, v130, s[8:9] offset:264          // 0000000119F0: DD348108 00088206
	s_mov_b64 exec, s[36:37]                                   // 0000000119F8: BEFE0124
	v_mov_b32_e32 v6, v77                                      // 0000000119FC: 7E0C034D
	s_mov_b64 s[60:61], 0                                      // 000000011A00: BEBC0180
	v_readlane_b32 s82, v3, 18                                 // 000000011A04: D2890052 00012503
	s_and_b32 s82, s82, 0xffffff                               // 000000011A0C: 8652FF52 00FFFFFF
	s_cmp_lt_u32 s82, s66                                      // 000000011A14: BF0A4252
	s_cselect_b32 s20, s36, s60                                // 000000011A18: 85143C24
	v_readlane_b32 s82, v3, 19                                 // 000000011A1C: D2890052 00012703
	s_and_b32 s82, s82, 0xffffff                               // 000000011A24: 8652FF52 00FFFFFF
	s_cmp_lt_u32 s82, s66                                      // 000000011A2C: BF0A4252
	s_cselect_b32 s21, s36, s60                                // 000000011A30: 85153C24
	s_mov_b64 exec, s[20:21]                                   // 000000011A34: BEFE0114
	global_atomic_add_f32 v6, v127, s[8:9] offset:8            // 000000011A38: DD348008 00087F06
	global_atomic_add_f32 v6, v131, s[8:9] offset:264          // 000000011A40: DD348108 00088306
	s_mov_b64 exec, s[36:37]                                   // 000000011A48: BEFE0124
	v_mov_b32_e32 v6, v78                                      // 000000011A4C: 7E0C034E
	s_mov_b64 s[60:61], 0                                      // 000000011A50: BEBC0180
	v_readlane_b32 s82, v3, 20                                 // 000000011A54: D2890052 00012903
	s_and_b32 s82, s82, 0xffffff                               // 000000011A5C: 8652FF52 00FFFFFF
	s_cmp_lt_u32 s82, s66                                      // 000000011A64: BF0A4252
	s_cselect_b32 s20, s36, s60                                // 000000011A68: 85143C24
	v_readlane_b32 s82, v3, 21                                 // 000000011A6C: D2890052 00012B03
	s_and_b32 s82, s82, 0xffffff                               // 000000011A74: 8652FF52 00FFFFFF
	s_cmp_lt_u32 s82, s66                                      // 000000011A7C: BF0A4252
	s_cselect_b32 s21, s36, s60                                // 000000011A80: 85153C24
	s_mov_b64 exec, s[20:21]                                   // 000000011A84: BEFE0114
	global_atomic_add_f32 v6, v134, s[8:9] offset:8            // 000000011A88: DD348008 00088606
	global_atomic_add_f32 v6, v138, s[8:9] offset:264          // 000000011A90: DD348108 00088A06
	s_mov_b64 exec, s[36:37]                                   // 000000011A98: BEFE0124
	v_mov_b32_e32 v6, v79                                      // 000000011A9C: 7E0C034F
	s_mov_b64 s[60:61], 0                                      // 000000011AA0: BEBC0180
	v_readlane_b32 s82, v3, 22                                 // 000000011AA4: D2890052 00012D03
	s_and_b32 s82, s82, 0xffffff                               // 000000011AAC: 8652FF52 00FFFFFF
	s_cmp_lt_u32 s82, s66                                      // 000000011AB4: BF0A4252
	s_cselect_b32 s20, s36, s60                                // 000000011AB8: 85143C24
	v_readlane_b32 s82, v3, 23                                 // 000000011ABC: D2890052 00012F03
	s_and_b32 s82, s82, 0xffffff                               // 000000011AC4: 8652FF52 00FFFFFF
	s_cmp_lt_u32 s82, s66                                      // 000000011ACC: BF0A4252
	s_cselect_b32 s21, s36, s60                                // 000000011AD0: 85153C24
	s_mov_b64 exec, s[20:21]                                   // 000000011AD4: BEFE0114
	global_atomic_add_f32 v6, v135, s[8:9] offset:8            // 000000011AD8: DD348008 00088706
	global_atomic_add_f32 v6, v139, s[8:9] offset:264          // 000000011AE0: DD348108 00088B06
	s_mov_b64 exec, s[36:37]                                   // 000000011AE8: BEFE0124
	v_mov_b32_e32 v6, v80                                      // 000000011AEC: 7E0C0350
	s_mov_b64 s[60:61], 0                                      // 000000011AF0: BEBC0180
	v_readlane_b32 s82, v3, 24                                 // 000000011AF4: D2890052 00013103
	s_and_b32 s82, s82, 0xffffff                               // 000000011AFC: 8652FF52 00FFFFFF
	s_cmp_lt_u32 s82, s66                                      // 000000011B04: BF0A4252
	s_cselect_b32 s20, s36, s60                                // 000000011B08: 85143C24
	v_readlane_b32 s82, v3, 25                                 // 000000011B0C: D2890052 00013303
	s_and_b32 s82, s82, 0xffffff                               // 000000011B14: 8652FF52 00FFFFFF
	s_cmp_lt_u32 s82, s66                                      // 000000011B1C: BF0A4252
	s_cselect_b32 s21, s36, s60                                // 000000011B20: 85153C24
	s_mov_b64 exec, s[20:21]                                   // 000000011B24: BEFE0114
	global_atomic_add_f32 v6, v142, s[8:9] offset:8            // 000000011B28: DD348008 00088E06
	global_atomic_add_f32 v6, v146, s[8:9] offset:264          // 000000011B30: DD348108 00089206
	s_mov_b64 exec, s[36:37]                                   // 000000011B38: BEFE0124
	v_mov_b32_e32 v6, v81                                      // 000000011B3C: 7E0C0351
	s_mov_b64 s[60:61], 0                                      // 000000011B40: BEBC0180
	v_readlane_b32 s82, v3, 26                                 // 000000011B44: D2890052 00013503
	s_and_b32 s82, s82, 0xffffff                               // 000000011B4C: 8652FF52 00FFFFFF
	s_cmp_lt_u32 s82, s66                                      // 000000011B54: BF0A4252
	s_cselect_b32 s20, s36, s60                                // 000000011B58: 85143C24
	v_readlane_b32 s82, v3, 27                                 // 000000011B5C: D2890052 00013703
	s_and_b32 s82, s82, 0xffffff                               // 000000011B64: 8652FF52 00FFFFFF
	s_cmp_lt_u32 s82, s66                                      // 000000011B6C: BF0A4252
	s_cselect_b32 s21, s36, s60                                // 000000011B70: 85153C24
	s_mov_b64 exec, s[20:21]                                   // 000000011B74: BEFE0114
	global_atomic_add_f32 v6, v143, s[8:9] offset:8            // 000000011B78: DD348008 00088F06
	global_atomic_add_f32 v6, v147, s[8:9] offset:264          // 000000011B80: DD348108 00089306
	s_mov_b64 exec, s[36:37]                                   // 000000011B88: BEFE0124
	v_mov_b32_e32 v6, v82                                      // 000000011B8C: 7E0C0352
	s_mov_b64 s[60:61], 0                                      // 000000011B90: BEBC0180
	v_readlane_b32 s82, v3, 28                                 // 000000011B94: D2890052 00013903
	s_and_b32 s82, s82, 0xffffff                               // 000000011B9C: 8652FF52 00FFFFFF
	s_cmp_lt_u32 s82, s66                                      // 000000011BA4: BF0A4252
	s_cselect_b32 s20, s36, s60                                // 000000011BA8: 85143C24
	v_readlane_b32 s82, v3, 29                                 // 000000011BAC: D2890052 00013B03
	s_and_b32 s82, s82, 0xffffff                               // 000000011BB4: 8652FF52 00FFFFFF
	s_cmp_lt_u32 s82, s66                                      // 000000011BBC: BF0A4252
	s_cselect_b32 s21, s36, s60                                // 000000011BC0: 85153C24
	s_mov_b64 exec, s[20:21]                                   // 000000011BC4: BEFE0114
	global_atomic_add_f32 v6, v150, s[8:9] offset:8            // 000000011BC8: DD348008 00089606
	global_atomic_add_f32 v6, v154, s[8:9] offset:264          // 000000011BD0: DD348108 00089A06
	s_mov_b64 exec, s[36:37]                                   // 000000011BD8: BEFE0124
	v_mov_b32_e32 v6, v83                                      // 000000011BDC: 7E0C0353
	s_mov_b64 s[60:61], 0                                      // 000000011BE0: BEBC0180
	v_readlane_b32 s82, v3, 30                                 // 000000011BE4: D2890052 00013D03
	s_and_b32 s82, s82, 0xffffff                               // 000000011BEC: 8652FF52 00FFFFFF
	s_cmp_lt_u32 s82, s66                                      // 000000011BF4: BF0A4252
	s_cselect_b32 s20, s36, s60                                // 000000011BF8: 85143C24
	v_readlane_b32 s82, v3, 31                                 // 000000011BFC: D2890052 00013F03
	s_and_b32 s82, s82, 0xffffff                               // 000000011C04: 8652FF52 00FFFFFF
	s_cmp_lt_u32 s82, s66                                      // 000000011C0C: BF0A4252
	s_cselect_b32 s21, s36, s60                                // 000000011C10: 85153C24
	s_mov_b64 exec, s[20:21]                                   // 000000011C14: BEFE0114
	global_atomic_add_f32 v6, v151, s[8:9] offset:8            // 000000011C18: DD348008 00089706
	global_atomic_add_f32 v6, v155, s[8:9] offset:264          // 000000011C20: DD348108 00089B06
	s_mov_b64 exec, s[36:37]                                   // 000000011C28: BEFE0124
	v_mov_b32_e32 v6, v84                                      // 000000011C2C: 7E0C0354
	s_mov_b64 s[60:61], 0                                      // 000000011C30: BEBC0180
	v_readlane_b32 s82, v3, 32                                 // 000000011C34: D2890052 00014103
	s_and_b32 s82, s82, 0xffffff                               // 000000011C3C: 8652FF52 00FFFFFF
	s_cmp_lt_u32 s82, s66                                      // 000000011C44: BF0A4252
	s_cselect_b32 s20, s36, s60                                // 000000011C48: 85143C24
	v_readlane_b32 s82, v3, 33                                 // 000000011C4C: D2890052 00014303
	s_and_b32 s82, s82, 0xffffff                               // 000000011C54: 8652FF52 00FFFFFF
	s_cmp_lt_u32 s82, s66                                      // 000000011C5C: BF0A4252
	s_cselect_b32 s21, s36, s60                                // 000000011C60: 85153C24
	s_mov_b64 exec, s[20:21]                                   // 000000011C64: BEFE0114
	global_atomic_add_f32 v6, v158, s[8:9] offset:8            // 000000011C68: DD348008 00089E06
	global_atomic_add_f32 v6, v162, s[8:9] offset:264          // 000000011C70: DD348108 0008A206
	s_mov_b64 exec, s[36:37]                                   // 000000011C78: BEFE0124
	v_mov_b32_e32 v6, v85                                      // 000000011C7C: 7E0C0355
	s_mov_b64 s[60:61], 0                                      // 000000011C80: BEBC0180
	v_readlane_b32 s82, v3, 34                                 // 000000011C84: D2890052 00014503
	s_and_b32 s82, s82, 0xffffff                               // 000000011C8C: 8652FF52 00FFFFFF
	s_cmp_lt_u32 s82, s66                                      // 000000011C94: BF0A4252
	s_cselect_b32 s20, s36, s60                                // 000000011C98: 85143C24
	v_readlane_b32 s82, v3, 35                                 // 000000011C9C: D2890052 00014703
	s_and_b32 s82, s82, 0xffffff                               // 000000011CA4: 8652FF52 00FFFFFF
	s_cmp_lt_u32 s82, s66                                      // 000000011CAC: BF0A4252
	s_cselect_b32 s21, s36, s60                                // 000000011CB0: 85153C24
	s_mov_b64 exec, s[20:21]                                   // 000000011CB4: BEFE0114
	global_atomic_add_f32 v6, v159, s[8:9] offset:8            // 000000011CB8: DD348008 00089F06
	global_atomic_add_f32 v6, v163, s[8:9] offset:264          // 000000011CC0: DD348108 0008A306
	s_mov_b64 exec, s[36:37]                                   // 000000011CC8: BEFE0124
	v_mov_b32_e32 v6, v86                                      // 000000011CCC: 7E0C0356
	s_mov_b64 s[60:61], 0                                      // 000000011CD0: BEBC0180
	v_readlane_b32 s82, v3, 36                                 // 000000011CD4: D2890052 00014903
	s_and_b32 s82, s82, 0xffffff                               // 000000011CDC: 8652FF52 00FFFFFF
	s_cmp_lt_u32 s82, s66                                      // 000000011CE4: BF0A4252
	s_cselect_b32 s20, s36, s60                                // 000000011CE8: 85143C24
	v_readlane_b32 s82, v3, 37                                 // 000000011CEC: D2890052 00014B03
	s_and_b32 s82, s82, 0xffffff                               // 000000011CF4: 8652FF52 00FFFFFF
	s_cmp_lt_u32 s82, s66                                      // 000000011CFC: BF0A4252
	s_cselect_b32 s21, s36, s60                                // 000000011D00: 85153C24
	s_mov_b64 exec, s[20:21]                                   // 000000011D04: BEFE0114
	global_atomic_add_f32 v6, v166, s[8:9] offset:8            // 000000011D08: DD348008 0008A606
	global_atomic_add_f32 v6, v170, s[8:9] offset:264          // 000000011D10: DD348108 0008AA06
	s_mov_b64 exec, s[36:37]                                   // 000000011D18: BEFE0124
	v_mov_b32_e32 v6, v87                                      // 000000011D1C: 7E0C0357
	s_mov_b64 s[60:61], 0                                      // 000000011D20: BEBC0180
	v_readlane_b32 s82, v3, 38                                 // 000000011D24: D2890052 00014D03
	s_and_b32 s82, s82, 0xffffff                               // 000000011D2C: 8652FF52 00FFFFFF
	s_cmp_lt_u32 s82, s66                                      // 000000011D34: BF0A4252
	s_cselect_b32 s20, s36, s60                                // 000000011D38: 85143C24
	v_readlane_b32 s82, v3, 39                                 // 000000011D3C: D2890052 00014F03
	s_and_b32 s82, s82, 0xffffff                               // 000000011D44: 8652FF52 00FFFFFF
	s_cmp_lt_u32 s82, s66                                      // 000000011D4C: BF0A4252
	s_cselect_b32 s21, s36, s60                                // 000000011D50: 85153C24
	s_mov_b64 exec, s[20:21]                                   // 000000011D54: BEFE0114
	global_atomic_add_f32 v6, v167, s[8:9] offset:8            // 000000011D58: DD348008 0008A706
	global_atomic_add_f32 v6, v171, s[8:9] offset:264          // 000000011D60: DD348108 0008AB06
	s_mov_b64 exec, s[36:37]                                   // 000000011D68: BEFE0124
	ds_write_b64 v20, v[172:173]                               // 000000011D6C: D89A0000 0000AC14
	ds_write_b64 v20, v[176:177] offset:4352                   // 000000011D74: D89A1100 0000B014
	ds_write_b64 v20, v[180:181] offset:8704                   // 000000011D7C: D89A2200 0000B414
	ds_write_b64 v20, v[184:185] offset:13056                  // 000000011D84: D89A3300 0000B814
	ds_write_b64 v20, v[188:189] offset:17408                  // 000000011D8C: D89A4400 0000BC14
	ds_write_b64 v20, v[192:193] offset:21760                  // 000000011D94: D89A5500 0000C014
	ds_write_b64 v20, v[196:197] offset:26112                  // 000000011D9C: D89A6600 0000C414
	ds_write_b64 v20, v[200:201] offset:30464                  // 000000011DA4: D89A7700 0000C814
	ds_write_b64 v20, v[204:205] offset:34816                  // 000000011DAC: D89A8800 0000CC14
	ds_write_b64 v20, v[208:209] offset:39168                  // 000000011DB4: D89A9900 0000D014
	ds_write_b64 v20, v[212:213] offset:2176                   // 000000011DBC: D89A0880 0000D414
	ds_write_b64 v20, v[216:217] offset:6528                   // 000000011DC4: D89A1980 0000D814
	ds_write_b64 v20, v[220:221] offset:10880                  // 000000011DCC: D89A2A80 0000DC14
	ds_write_b64 v20, v[224:225] offset:15232                  // 000000011DD4: D89A3B80 0000E014
	ds_write_b64 v20, v[228:229] offset:19584                  // 000000011DDC: D89A4C80 0000E414
	ds_write_b64 v20, v[232:233] offset:23936                  // 000000011DE4: D89A5D80 0000E814
	ds_write_b64 v20, v[236:237] offset:28288                  // 000000011DEC: D89A6E80 0000EC14
	ds_write_b64 v20, v[240:241] offset:32640                  // 000000011DF4: D89A7F80 0000F014
	ds_write_b64 v20, v[244:245] offset:36992                  // 000000011DFC: D89A9080 0000F414
	ds_write_b64 v20, v[248:249] offset:41344                  // 000000011E04: D89AA180 0000F814
	s_waitcnt lgkmcnt(0)                                       // 000000011E0C: BF8CC07F
	s_barrier                                                  // 000000011E10: BF8A0000
	ds_read_b32 v172, v21                                      // 000000011E14: D86C0000 AC000015
	ds_read_b32 v173, v21 offset:64                            // 000000011E1C: D86C0040 AD000015
	ds_read_b32 v176, v21 offset:2176                          // 000000011E24: D86C0880 B0000015
	ds_read_b32 v177, v21 offset:2240                          // 000000011E2C: D86C08C0 B1000015
	ds_read_b32 v180, v21 offset:4352                          // 000000011E34: D86C1100 B4000015
	ds_read_b32 v181, v21 offset:4416                          // 000000011E3C: D86C1140 B5000015
	ds_read_b32 v184, v21 offset:6528                          // 000000011E44: D86C1980 B8000015
	ds_read_b32 v185, v21 offset:6592                          // 000000011E4C: D86C19C0 B9000015
	ds_read_b32 v188, v21 offset:8704                          // 000000011E54: D86C2200 BC000015
	ds_read_b32 v189, v21 offset:8768                          // 000000011E5C: D86C2240 BD000015
	ds_read_b32 v192, v21 offset:10880                         // 000000011E64: D86C2A80 C0000015
	ds_read_b32 v193, v21 offset:10944                         // 000000011E6C: D86C2AC0 C1000015
	ds_read_b32 v196, v21 offset:13056                         // 000000011E74: D86C3300 C4000015
	ds_read_b32 v197, v21 offset:13120                         // 000000011E7C: D86C3340 C5000015
	ds_read_b32 v200, v21 offset:15232                         // 000000011E84: D86C3B80 C8000015
	ds_read_b32 v201, v21 offset:15296                         // 000000011E8C: D86C3BC0 C9000015
	ds_read_b32 v204, v21 offset:17408                         // 000000011E94: D86C4400 CC000015
	ds_read_b32 v205, v21 offset:17472                         // 000000011E9C: D86C4440 CD000015
	ds_read_b32 v208, v21 offset:19584                         // 000000011EA4: D86C4C80 D0000015
	ds_read_b32 v209, v21 offset:19648                         // 000000011EAC: D86C4CC0 D1000015
	ds_read_b32 v212, v21 offset:21760                         // 000000011EB4: D86C5500 D4000015
	ds_read_b32 v213, v21 offset:21824                         // 000000011EBC: D86C5540 D5000015
	ds_read_b32 v216, v21 offset:23936                         // 000000011EC4: D86C5D80 D8000015
	ds_read_b32 v217, v21 offset:24000                         // 000000011ECC: D86C5DC0 D9000015
	ds_read_b32 v220, v21 offset:26112                         // 000000011ED4: D86C6600 DC000015
	ds_read_b32 v221, v21 offset:26176                         // 000000011EDC: D86C6640 DD000015
	ds_read_b32 v224, v21 offset:28288                         // 000000011EE4: D86C6E80 E0000015
	ds_read_b32 v225, v21 offset:28352                         // 000000011EEC: D86C6EC0 E1000015
	ds_read_b32 v228, v21 offset:30464                         // 000000011EF4: D86C7700 E4000015
	ds_read_b32 v229, v21 offset:30528                         // 000000011EFC: D86C7740 E5000015
	ds_read_b32 v232, v21 offset:32640                         // 000000011F04: D86C7F80 E8000015
	ds_read_b32 v233, v21 offset:32704                         // 000000011F0C: D86C7FC0 E9000015
	ds_read_b32 v236, v21 offset:34816                         // 000000011F14: D86C8800 EC000015
	ds_read_b32 v237, v21 offset:34880                         // 000000011F1C: D86C8840 ED000015
	ds_read_b32 v240, v21 offset:36992                         // 000000011F24: D86C9080 F0000015
	ds_read_b32 v241, v21 offset:37056                         // 000000011F2C: D86C90C0 F1000015
	ds_read_b32 v244, v21 offset:39168                         // 000000011F34: D86C9900 F4000015
	ds_read_b32 v245, v21 offset:39232                         // 000000011F3C: D86C9940 F5000015
	ds_read_b32 v248, v21 offset:41344                         // 000000011F44: D86CA180 F8000015
	ds_read_b32 v249, v21 offset:41408                         // 000000011F4C: D86CA1C0 F9000015
	s_mul_i32 s60, s65, 4                                      // 000000011F54: 923C8441
	s_add_u32 s8, s60, s8                                      // 000000011F58: 8008083C
	s_addc_u32 s9, 0, s9                                       // 000000011F5C: 82090980
	s_waitcnt lgkmcnt(0)                                       // 000000011F60: BF8CC07F
	v_mov_b32_e32 v7, 0                                        // 000000011F64: 7E0E0280
	s_mov_b64 exec, s[36:37]                                   // 000000011F68: BEFE0124
	v_mov_b32_e32 v6, v68                                      // 000000011F6C: 7E0C0344
	s_mov_b64 s[60:61], 0                                      // 000000011F70: BEBC0180
	v_readlane_b32 s82, v3, 0                                  // 000000011F74: D2890052 00010103
	s_and_b32 s82, s82, 0xffffff                               // 000000011F7C: 8652FF52 00FFFFFF
	s_cmp_lt_u32 s82, s66                                      // 000000011F84: BF0A4252
	s_cselect_b32 s20, s36, s60                                // 000000011F88: 85143C24
	v_readlane_b32 s82, v3, 1                                  // 000000011F8C: D2890052 00010303
	s_and_b32 s82, s82, 0xffffff                               // 000000011F94: 8652FF52 00FFFFFF
	s_cmp_lt_u32 s82, s66                                      // 000000011F9C: BF0A4252
	s_cselect_b32 s21, s36, s60                                // 000000011FA0: 85153C24
	s_mov_b64 exec, s[20:21]                                   // 000000011FA4: BEFE0114
	global_atomic_add_f32 v6, v172, s[8:9]                     // 000000011FA8: DD348000 0008AC06
	global_atomic_add_f32 v6, v176, s[8:9] offset:256          // 000000011FB0: DD348100 0008B006
	s_mov_b64 exec, s[36:37]                                   // 000000011FB8: BEFE0124
	v_mov_b32_e32 v6, v69                                      // 000000011FBC: 7E0C0345
	s_mov_b64 s[60:61], 0                                      // 000000011FC0: BEBC0180
	v_readlane_b32 s82, v3, 2                                  // 000000011FC4: D2890052 00010503
	s_and_b32 s82, s82, 0xffffff                               // 000000011FCC: 8652FF52 00FFFFFF
	s_cmp_lt_u32 s82, s66                                      // 000000011FD4: BF0A4252
	s_cselect_b32 s20, s36, s60                                // 000000011FD8: 85143C24
	v_readlane_b32 s82, v3, 3                                  // 000000011FDC: D2890052 00010703
	s_and_b32 s82, s82, 0xffffff                               // 000000011FE4: 8652FF52 00FFFFFF
	s_cmp_lt_u32 s82, s66                                      // 000000011FEC: BF0A4252
	s_cselect_b32 s21, s36, s60                                // 000000011FF0: 85153C24
	s_mov_b64 exec, s[20:21]                                   // 000000011FF4: BEFE0114
	global_atomic_add_f32 v6, v173, s[8:9]                     // 000000011FF8: DD348000 0008AD06
	global_atomic_add_f32 v6, v177, s[8:9] offset:256          // 000000012000: DD348100 0008B106
	s_mov_b64 exec, s[36:37]                                   // 000000012008: BEFE0124
	v_mov_b32_e32 v6, v70                                      // 00000001200C: 7E0C0346
	s_mov_b64 s[60:61], 0                                      // 000000012010: BEBC0180
	v_readlane_b32 s82, v3, 4                                  // 000000012014: D2890052 00010903
	s_and_b32 s82, s82, 0xffffff                               // 00000001201C: 8652FF52 00FFFFFF
	s_cmp_lt_u32 s82, s66                                      // 000000012024: BF0A4252
	s_cselect_b32 s20, s36, s60                                // 000000012028: 85143C24
	v_readlane_b32 s82, v3, 5                                  // 00000001202C: D2890052 00010B03
	s_and_b32 s82, s82, 0xffffff                               // 000000012034: 8652FF52 00FFFFFF
	s_cmp_lt_u32 s82, s66                                      // 00000001203C: BF0A4252
	s_cselect_b32 s21, s36, s60                                // 000000012040: 85153C24
	s_mov_b64 exec, s[20:21]                                   // 000000012044: BEFE0114
	global_atomic_add_f32 v6, v180, s[8:9]                     // 000000012048: DD348000 0008B406
	global_atomic_add_f32 v6, v184, s[8:9] offset:256          // 000000012050: DD348100 0008B806
	s_mov_b64 exec, s[36:37]                                   // 000000012058: BEFE0124
	v_mov_b32_e32 v6, v71                                      // 00000001205C: 7E0C0347
	s_mov_b64 s[60:61], 0                                      // 000000012060: BEBC0180
	v_readlane_b32 s82, v3, 6                                  // 000000012064: D2890052 00010D03
	s_and_b32 s82, s82, 0xffffff                               // 00000001206C: 8652FF52 00FFFFFF
	s_cmp_lt_u32 s82, s66                                      // 000000012074: BF0A4252
	s_cselect_b32 s20, s36, s60                                // 000000012078: 85143C24
	v_readlane_b32 s82, v3, 7                                  // 00000001207C: D2890052 00010F03
	s_and_b32 s82, s82, 0xffffff                               // 000000012084: 8652FF52 00FFFFFF
	s_cmp_lt_u32 s82, s66                                      // 00000001208C: BF0A4252
	s_cselect_b32 s21, s36, s60                                // 000000012090: 85153C24
	s_mov_b64 exec, s[20:21]                                   // 000000012094: BEFE0114
	global_atomic_add_f32 v6, v181, s[8:9]                     // 000000012098: DD348000 0008B506
	global_atomic_add_f32 v6, v185, s[8:9] offset:256          // 0000000120A0: DD348100 0008B906
	s_mov_b64 exec, s[36:37]                                   // 0000000120A8: BEFE0124
	v_mov_b32_e32 v6, v72                                      // 0000000120AC: 7E0C0348
	s_mov_b64 s[60:61], 0                                      // 0000000120B0: BEBC0180
	v_readlane_b32 s82, v3, 8                                  // 0000000120B4: D2890052 00011103
	s_and_b32 s82, s82, 0xffffff                               // 0000000120BC: 8652FF52 00FFFFFF
	s_cmp_lt_u32 s82, s66                                      // 0000000120C4: BF0A4252
	s_cselect_b32 s20, s36, s60                                // 0000000120C8: 85143C24
	v_readlane_b32 s82, v3, 9                                  // 0000000120CC: D2890052 00011303
	s_and_b32 s82, s82, 0xffffff                               // 0000000120D4: 8652FF52 00FFFFFF
	s_cmp_lt_u32 s82, s66                                      // 0000000120DC: BF0A4252
	s_cselect_b32 s21, s36, s60                                // 0000000120E0: 85153C24
	s_mov_b64 exec, s[20:21]                                   // 0000000120E4: BEFE0114
	global_atomic_add_f32 v6, v188, s[8:9]                     // 0000000120E8: DD348000 0008BC06
	global_atomic_add_f32 v6, v192, s[8:9] offset:256          // 0000000120F0: DD348100 0008C006
	s_mov_b64 exec, s[36:37]                                   // 0000000120F8: BEFE0124
	v_mov_b32_e32 v6, v73                                      // 0000000120FC: 7E0C0349
	s_mov_b64 s[60:61], 0                                      // 000000012100: BEBC0180
	v_readlane_b32 s82, v3, 10                                 // 000000012104: D2890052 00011503
	s_and_b32 s82, s82, 0xffffff                               // 00000001210C: 8652FF52 00FFFFFF
	s_cmp_lt_u32 s82, s66                                      // 000000012114: BF0A4252
	s_cselect_b32 s20, s36, s60                                // 000000012118: 85143C24
	v_readlane_b32 s82, v3, 11                                 // 00000001211C: D2890052 00011703
	s_and_b32 s82, s82, 0xffffff                               // 000000012124: 8652FF52 00FFFFFF
	s_cmp_lt_u32 s82, s66                                      // 00000001212C: BF0A4252
	s_cselect_b32 s21, s36, s60                                // 000000012130: 85153C24
	s_mov_b64 exec, s[20:21]                                   // 000000012134: BEFE0114
	global_atomic_add_f32 v6, v189, s[8:9]                     // 000000012138: DD348000 0008BD06
	global_atomic_add_f32 v6, v193, s[8:9] offset:256          // 000000012140: DD348100 0008C106
	s_mov_b64 exec, s[36:37]                                   // 000000012148: BEFE0124
	v_mov_b32_e32 v6, v74                                      // 00000001214C: 7E0C034A
	s_mov_b64 s[60:61], 0                                      // 000000012150: BEBC0180
	v_readlane_b32 s82, v3, 12                                 // 000000012154: D2890052 00011903
	s_and_b32 s82, s82, 0xffffff                               // 00000001215C: 8652FF52 00FFFFFF
	s_cmp_lt_u32 s82, s66                                      // 000000012164: BF0A4252
	s_cselect_b32 s20, s36, s60                                // 000000012168: 85143C24
	v_readlane_b32 s82, v3, 13                                 // 00000001216C: D2890052 00011B03
	s_and_b32 s82, s82, 0xffffff                               // 000000012174: 8652FF52 00FFFFFF
	s_cmp_lt_u32 s82, s66                                      // 00000001217C: BF0A4252
	s_cselect_b32 s21, s36, s60                                // 000000012180: 85153C24
	s_mov_b64 exec, s[20:21]                                   // 000000012184: BEFE0114
	global_atomic_add_f32 v6, v196, s[8:9]                     // 000000012188: DD348000 0008C406
	global_atomic_add_f32 v6, v200, s[8:9] offset:256          // 000000012190: DD348100 0008C806
	s_mov_b64 exec, s[36:37]                                   // 000000012198: BEFE0124
	v_mov_b32_e32 v6, v75                                      // 00000001219C: 7E0C034B
	s_mov_b64 s[60:61], 0                                      // 0000000121A0: BEBC0180
	v_readlane_b32 s82, v3, 14                                 // 0000000121A4: D2890052 00011D03
	s_and_b32 s82, s82, 0xffffff                               // 0000000121AC: 8652FF52 00FFFFFF
	s_cmp_lt_u32 s82, s66                                      // 0000000121B4: BF0A4252
	s_cselect_b32 s20, s36, s60                                // 0000000121B8: 85143C24
	v_readlane_b32 s82, v3, 15                                 // 0000000121BC: D2890052 00011F03
	s_and_b32 s82, s82, 0xffffff                               // 0000000121C4: 8652FF52 00FFFFFF
	s_cmp_lt_u32 s82, s66                                      // 0000000121CC: BF0A4252
	s_cselect_b32 s21, s36, s60                                // 0000000121D0: 85153C24
	s_mov_b64 exec, s[20:21]                                   // 0000000121D4: BEFE0114
	global_atomic_add_f32 v6, v197, s[8:9]                     // 0000000121D8: DD348000 0008C506
	global_atomic_add_f32 v6, v201, s[8:9] offset:256          // 0000000121E0: DD348100 0008C906
	s_mov_b64 exec, s[36:37]                                   // 0000000121E8: BEFE0124
	v_mov_b32_e32 v6, v76                                      // 0000000121EC: 7E0C034C
	s_mov_b64 s[60:61], 0                                      // 0000000121F0: BEBC0180
	v_readlane_b32 s82, v3, 16                                 // 0000000121F4: D2890052 00012103
	s_and_b32 s82, s82, 0xffffff                               // 0000000121FC: 8652FF52 00FFFFFF
	s_cmp_lt_u32 s82, s66                                      // 000000012204: BF0A4252
	s_cselect_b32 s20, s36, s60                                // 000000012208: 85143C24
	v_readlane_b32 s82, v3, 17                                 // 00000001220C: D2890052 00012303
	s_and_b32 s82, s82, 0xffffff                               // 000000012214: 8652FF52 00FFFFFF
	s_cmp_lt_u32 s82, s66                                      // 00000001221C: BF0A4252
	s_cselect_b32 s21, s36, s60                                // 000000012220: 85153C24
	s_mov_b64 exec, s[20:21]                                   // 000000012224: BEFE0114
	global_atomic_add_f32 v6, v204, s[8:9]                     // 000000012228: DD348000 0008CC06
	global_atomic_add_f32 v6, v208, s[8:9] offset:256          // 000000012230: DD348100 0008D006
	s_mov_b64 exec, s[36:37]                                   // 000000012238: BEFE0124
	v_mov_b32_e32 v6, v77                                      // 00000001223C: 7E0C034D
	s_mov_b64 s[60:61], 0                                      // 000000012240: BEBC0180
	v_readlane_b32 s82, v3, 18                                 // 000000012244: D2890052 00012503
	s_and_b32 s82, s82, 0xffffff                               // 00000001224C: 8652FF52 00FFFFFF
	s_cmp_lt_u32 s82, s66                                      // 000000012254: BF0A4252
	s_cselect_b32 s20, s36, s60                                // 000000012258: 85143C24
	v_readlane_b32 s82, v3, 19                                 // 00000001225C: D2890052 00012703
	s_and_b32 s82, s82, 0xffffff                               // 000000012264: 8652FF52 00FFFFFF
	s_cmp_lt_u32 s82, s66                                      // 00000001226C: BF0A4252
	s_cselect_b32 s21, s36, s60                                // 000000012270: 85153C24
	s_mov_b64 exec, s[20:21]                                   // 000000012274: BEFE0114
	global_atomic_add_f32 v6, v205, s[8:9]                     // 000000012278: DD348000 0008CD06
	global_atomic_add_f32 v6, v209, s[8:9] offset:256          // 000000012280: DD348100 0008D106
	s_mov_b64 exec, s[36:37]                                   // 000000012288: BEFE0124
	v_mov_b32_e32 v6, v78                                      // 00000001228C: 7E0C034E
	s_mov_b64 s[60:61], 0                                      // 000000012290: BEBC0180
	v_readlane_b32 s82, v3, 20                                 // 000000012294: D2890052 00012903
	s_and_b32 s82, s82, 0xffffff                               // 00000001229C: 8652FF52 00FFFFFF
	s_cmp_lt_u32 s82, s66                                      // 0000000122A4: BF0A4252
	s_cselect_b32 s20, s36, s60                                // 0000000122A8: 85143C24
	v_readlane_b32 s82, v3, 21                                 // 0000000122AC: D2890052 00012B03
	s_and_b32 s82, s82, 0xffffff                               // 0000000122B4: 8652FF52 00FFFFFF
	s_cmp_lt_u32 s82, s66                                      // 0000000122BC: BF0A4252
	s_cselect_b32 s21, s36, s60                                // 0000000122C0: 85153C24
	s_mov_b64 exec, s[20:21]                                   // 0000000122C4: BEFE0114
	global_atomic_add_f32 v6, v212, s[8:9]                     // 0000000122C8: DD348000 0008D406
	global_atomic_add_f32 v6, v216, s[8:9] offset:256          // 0000000122D0: DD348100 0008D806
	s_mov_b64 exec, s[36:37]                                   // 0000000122D8: BEFE0124
	v_mov_b32_e32 v6, v79                                      // 0000000122DC: 7E0C034F
	s_mov_b64 s[60:61], 0                                      // 0000000122E0: BEBC0180
	v_readlane_b32 s82, v3, 22                                 // 0000000122E4: D2890052 00012D03
	s_and_b32 s82, s82, 0xffffff                               // 0000000122EC: 8652FF52 00FFFFFF
	s_cmp_lt_u32 s82, s66                                      // 0000000122F4: BF0A4252
	s_cselect_b32 s20, s36, s60                                // 0000000122F8: 85143C24
	v_readlane_b32 s82, v3, 23                                 // 0000000122FC: D2890052 00012F03
	s_and_b32 s82, s82, 0xffffff                               // 000000012304: 8652FF52 00FFFFFF
	s_cmp_lt_u32 s82, s66                                      // 00000001230C: BF0A4252
	s_cselect_b32 s21, s36, s60                                // 000000012310: 85153C24
	s_mov_b64 exec, s[20:21]                                   // 000000012314: BEFE0114
	global_atomic_add_f32 v6, v213, s[8:9]                     // 000000012318: DD348000 0008D506
	global_atomic_add_f32 v6, v217, s[8:9] offset:256          // 000000012320: DD348100 0008D906
	s_mov_b64 exec, s[36:37]                                   // 000000012328: BEFE0124
	v_mov_b32_e32 v6, v80                                      // 00000001232C: 7E0C0350
	s_mov_b64 s[60:61], 0                                      // 000000012330: BEBC0180
	v_readlane_b32 s82, v3, 24                                 // 000000012334: D2890052 00013103
	s_and_b32 s82, s82, 0xffffff                               // 00000001233C: 8652FF52 00FFFFFF
	s_cmp_lt_u32 s82, s66                                      // 000000012344: BF0A4252
	s_cselect_b32 s20, s36, s60                                // 000000012348: 85143C24
	v_readlane_b32 s82, v3, 25                                 // 00000001234C: D2890052 00013303
	s_and_b32 s82, s82, 0xffffff                               // 000000012354: 8652FF52 00FFFFFF
	s_cmp_lt_u32 s82, s66                                      // 00000001235C: BF0A4252
	s_cselect_b32 s21, s36, s60                                // 000000012360: 85153C24
	s_mov_b64 exec, s[20:21]                                   // 000000012364: BEFE0114
	global_atomic_add_f32 v6, v220, s[8:9]                     // 000000012368: DD348000 0008DC06
	global_atomic_add_f32 v6, v224, s[8:9] offset:256          // 000000012370: DD348100 0008E006
	s_mov_b64 exec, s[36:37]                                   // 000000012378: BEFE0124
	v_mov_b32_e32 v6, v81                                      // 00000001237C: 7E0C0351
	s_mov_b64 s[60:61], 0                                      // 000000012380: BEBC0180
	v_readlane_b32 s82, v3, 26                                 // 000000012384: D2890052 00013503
	s_and_b32 s82, s82, 0xffffff                               // 00000001238C: 8652FF52 00FFFFFF
	s_cmp_lt_u32 s82, s66                                      // 000000012394: BF0A4252
	s_cselect_b32 s20, s36, s60                                // 000000012398: 85143C24
	v_readlane_b32 s82, v3, 27                                 // 00000001239C: D2890052 00013703
	s_and_b32 s82, s82, 0xffffff                               // 0000000123A4: 8652FF52 00FFFFFF
	s_cmp_lt_u32 s82, s66                                      // 0000000123AC: BF0A4252
	s_cselect_b32 s21, s36, s60                                // 0000000123B0: 85153C24
	s_mov_b64 exec, s[20:21]                                   // 0000000123B4: BEFE0114
	global_atomic_add_f32 v6, v221, s[8:9]                     // 0000000123B8: DD348000 0008DD06
	global_atomic_add_f32 v6, v225, s[8:9] offset:256          // 0000000123C0: DD348100 0008E106
	s_mov_b64 exec, s[36:37]                                   // 0000000123C8: BEFE0124
	v_mov_b32_e32 v6, v82                                      // 0000000123CC: 7E0C0352
	s_mov_b64 s[60:61], 0                                      // 0000000123D0: BEBC0180
	v_readlane_b32 s82, v3, 28                                 // 0000000123D4: D2890052 00013903
	s_and_b32 s82, s82, 0xffffff                               // 0000000123DC: 8652FF52 00FFFFFF
	s_cmp_lt_u32 s82, s66                                      // 0000000123E4: BF0A4252
	s_cselect_b32 s20, s36, s60                                // 0000000123E8: 85143C24
	v_readlane_b32 s82, v3, 29                                 // 0000000123EC: D2890052 00013B03
	s_and_b32 s82, s82, 0xffffff                               // 0000000123F4: 8652FF52 00FFFFFF
	s_cmp_lt_u32 s82, s66                                      // 0000000123FC: BF0A4252
	s_cselect_b32 s21, s36, s60                                // 000000012400: 85153C24
	s_mov_b64 exec, s[20:21]                                   // 000000012404: BEFE0114
	global_atomic_add_f32 v6, v228, s[8:9]                     // 000000012408: DD348000 0008E406
	global_atomic_add_f32 v6, v232, s[8:9] offset:256          // 000000012410: DD348100 0008E806
	s_mov_b64 exec, s[36:37]                                   // 000000012418: BEFE0124
	v_mov_b32_e32 v6, v83                                      // 00000001241C: 7E0C0353
	s_mov_b64 s[60:61], 0                                      // 000000012420: BEBC0180
	v_readlane_b32 s82, v3, 30                                 // 000000012424: D2890052 00013D03
	s_and_b32 s82, s82, 0xffffff                               // 00000001242C: 8652FF52 00FFFFFF
	s_cmp_lt_u32 s82, s66                                      // 000000012434: BF0A4252
	s_cselect_b32 s20, s36, s60                                // 000000012438: 85143C24
	v_readlane_b32 s82, v3, 31                                 // 00000001243C: D2890052 00013F03
	s_and_b32 s82, s82, 0xffffff                               // 000000012444: 8652FF52 00FFFFFF
	s_cmp_lt_u32 s82, s66                                      // 00000001244C: BF0A4252
	s_cselect_b32 s21, s36, s60                                // 000000012450: 85153C24
	s_mov_b64 exec, s[20:21]                                   // 000000012454: BEFE0114
	global_atomic_add_f32 v6, v229, s[8:9]                     // 000000012458: DD348000 0008E506
	global_atomic_add_f32 v6, v233, s[8:9] offset:256          // 000000012460: DD348100 0008E906
	s_mov_b64 exec, s[36:37]                                   // 000000012468: BEFE0124
	v_mov_b32_e32 v6, v84                                      // 00000001246C: 7E0C0354
	s_mov_b64 s[60:61], 0                                      // 000000012470: BEBC0180
	v_readlane_b32 s82, v3, 32                                 // 000000012474: D2890052 00014103
	s_and_b32 s82, s82, 0xffffff                               // 00000001247C: 8652FF52 00FFFFFF
	s_cmp_lt_u32 s82, s66                                      // 000000012484: BF0A4252
	s_cselect_b32 s20, s36, s60                                // 000000012488: 85143C24
	v_readlane_b32 s82, v3, 33                                 // 00000001248C: D2890052 00014303
	s_and_b32 s82, s82, 0xffffff                               // 000000012494: 8652FF52 00FFFFFF
	s_cmp_lt_u32 s82, s66                                      // 00000001249C: BF0A4252
	s_cselect_b32 s21, s36, s60                                // 0000000124A0: 85153C24
	s_mov_b64 exec, s[20:21]                                   // 0000000124A4: BEFE0114
	global_atomic_add_f32 v6, v236, s[8:9]                     // 0000000124A8: DD348000 0008EC06
	global_atomic_add_f32 v6, v240, s[8:9] offset:256          // 0000000124B0: DD348100 0008F006
	s_mov_b64 exec, s[36:37]                                   // 0000000124B8: BEFE0124
	v_mov_b32_e32 v6, v85                                      // 0000000124BC: 7E0C0355
	s_mov_b64 s[60:61], 0                                      // 0000000124C0: BEBC0180
	v_readlane_b32 s82, v3, 34                                 // 0000000124C4: D2890052 00014503
	s_and_b32 s82, s82, 0xffffff                               // 0000000124CC: 8652FF52 00FFFFFF
	s_cmp_lt_u32 s82, s66                                      // 0000000124D4: BF0A4252
	s_cselect_b32 s20, s36, s60                                // 0000000124D8: 85143C24
	v_readlane_b32 s82, v3, 35                                 // 0000000124DC: D2890052 00014703
	s_and_b32 s82, s82, 0xffffff                               // 0000000124E4: 8652FF52 00FFFFFF
	s_cmp_lt_u32 s82, s66                                      // 0000000124EC: BF0A4252
	s_cselect_b32 s21, s36, s60                                // 0000000124F0: 85153C24
	s_mov_b64 exec, s[20:21]                                   // 0000000124F4: BEFE0114
	global_atomic_add_f32 v6, v237, s[8:9]                     // 0000000124F8: DD348000 0008ED06
	global_atomic_add_f32 v6, v241, s[8:9] offset:256          // 000000012500: DD348100 0008F106
	s_mov_b64 exec, s[36:37]                                   // 000000012508: BEFE0124
	v_mov_b32_e32 v6, v86                                      // 00000001250C: 7E0C0356
	s_mov_b64 s[60:61], 0                                      // 000000012510: BEBC0180
	v_readlane_b32 s82, v3, 36                                 // 000000012514: D2890052 00014903
	s_and_b32 s82, s82, 0xffffff                               // 00000001251C: 8652FF52 00FFFFFF
	s_cmp_lt_u32 s82, s66                                      // 000000012524: BF0A4252
	s_cselect_b32 s20, s36, s60                                // 000000012528: 85143C24
	v_readlane_b32 s82, v3, 37                                 // 00000001252C: D2890052 00014B03
	s_and_b32 s82, s82, 0xffffff                               // 000000012534: 8652FF52 00FFFFFF
	s_cmp_lt_u32 s82, s66                                      // 00000001253C: BF0A4252
	s_cselect_b32 s21, s36, s60                                // 000000012540: 85153C24
	s_mov_b64 exec, s[20:21]                                   // 000000012544: BEFE0114
	global_atomic_add_f32 v6, v244, s[8:9]                     // 000000012548: DD348000 0008F406
	global_atomic_add_f32 v6, v248, s[8:9] offset:256          // 000000012550: DD348100 0008F806
	s_mov_b64 exec, s[36:37]                                   // 000000012558: BEFE0124
	v_mov_b32_e32 v6, v87                                      // 00000001255C: 7E0C0357
	s_mov_b64 s[60:61], 0                                      // 000000012560: BEBC0180
	v_readlane_b32 s82, v3, 38                                 // 000000012564: D2890052 00014D03
	s_and_b32 s82, s82, 0xffffff                               // 00000001256C: 8652FF52 00FFFFFF
	s_cmp_lt_u32 s82, s66                                      // 000000012574: BF0A4252
	s_cselect_b32 s20, s36, s60                                // 000000012578: 85143C24
	v_readlane_b32 s82, v3, 39                                 // 00000001257C: D2890052 00014F03
	s_and_b32 s82, s82, 0xffffff                               // 000000012584: 8652FF52 00FFFFFF
	s_cmp_lt_u32 s82, s66                                      // 00000001258C: BF0A4252
	s_cselect_b32 s21, s36, s60                                // 000000012590: 85153C24
	s_mov_b64 exec, s[20:21]                                   // 000000012594: BEFE0114
	global_atomic_add_f32 v6, v245, s[8:9]                     // 000000012598: DD348000 0008F506
	global_atomic_add_f32 v6, v249, s[8:9] offset:256          // 0000000125A0: DD348100 0008F906
	s_mov_b64 exec, s[36:37]                                   // 0000000125A8: BEFE0124
	ds_write_b64 v20, v[174:175]                               // 0000000125AC: D89A0000 0000AE14
	ds_write_b64 v20, v[178:179] offset:4352                   // 0000000125B4: D89A1100 0000B214
	ds_write_b64 v20, v[182:183] offset:8704                   // 0000000125BC: D89A2200 0000B614
	ds_write_b64 v20, v[186:187] offset:13056                  // 0000000125C4: D89A3300 0000BA14
	ds_write_b64 v20, v[190:191] offset:17408                  // 0000000125CC: D89A4400 0000BE14
	ds_write_b64 v20, v[194:195] offset:21760                  // 0000000125D4: D89A5500 0000C214
	ds_write_b64 v20, v[198:199] offset:26112                  // 0000000125DC: D89A6600 0000C614
	ds_write_b64 v20, v[202:203] offset:30464                  // 0000000125E4: D89A7700 0000CA14
	ds_write_b64 v20, v[206:207] offset:34816                  // 0000000125EC: D89A8800 0000CE14
	ds_write_b64 v20, v[210:211] offset:39168                  // 0000000125F4: D89A9900 0000D214
	ds_write_b64 v20, v[214:215] offset:2176                   // 0000000125FC: D89A0880 0000D614
	ds_write_b64 v20, v[218:219] offset:6528                   // 000000012604: D89A1980 0000DA14
	ds_write_b64 v20, v[222:223] offset:10880                  // 00000001260C: D89A2A80 0000DE14
	ds_write_b64 v20, v[226:227] offset:15232                  // 000000012614: D89A3B80 0000E214
	ds_write_b64 v20, v[230:231] offset:19584                  // 00000001261C: D89A4C80 0000E614
	ds_write_b64 v20, v[234:235] offset:23936                  // 000000012624: D89A5D80 0000EA14
	ds_write_b64 v20, v[238:239] offset:28288                  // 00000001262C: D89A6E80 0000EE14
	ds_write_b64 v20, v[242:243] offset:32640                  // 000000012634: D89A7F80 0000F214
	ds_write_b64 v20, v[246:247] offset:36992                  // 00000001263C: D89A9080 0000F614
	ds_write_b64 v20, v[250:251] offset:41344                  // 000000012644: D89AA180 0000FA14
	s_waitcnt lgkmcnt(0)                                       // 00000001264C: BF8CC07F
	s_barrier                                                  // 000000012650: BF8A0000
	ds_read_b32 v174, v21                                      // 000000012654: D86C0000 AE000015
	ds_read_b32 v175, v21 offset:64                            // 00000001265C: D86C0040 AF000015
	ds_read_b32 v178, v21 offset:2176                          // 000000012664: D86C0880 B2000015
	ds_read_b32 v179, v21 offset:2240                          // 00000001266C: D86C08C0 B3000015
	ds_read_b32 v182, v21 offset:4352                          // 000000012674: D86C1100 B6000015
	ds_read_b32 v183, v21 offset:4416                          // 00000001267C: D86C1140 B7000015
	ds_read_b32 v186, v21 offset:6528                          // 000000012684: D86C1980 BA000015
	ds_read_b32 v187, v21 offset:6592                          // 00000001268C: D86C19C0 BB000015
	ds_read_b32 v190, v21 offset:8704                          // 000000012694: D86C2200 BE000015
	ds_read_b32 v191, v21 offset:8768                          // 00000001269C: D86C2240 BF000015
	ds_read_b32 v194, v21 offset:10880                         // 0000000126A4: D86C2A80 C2000015
	ds_read_b32 v195, v21 offset:10944                         // 0000000126AC: D86C2AC0 C3000015
	ds_read_b32 v198, v21 offset:13056                         // 0000000126B4: D86C3300 C6000015
	ds_read_b32 v199, v21 offset:13120                         // 0000000126BC: D86C3340 C7000015
	ds_read_b32 v202, v21 offset:15232                         // 0000000126C4: D86C3B80 CA000015
	ds_read_b32 v203, v21 offset:15296                         // 0000000126CC: D86C3BC0 CB000015
	ds_read_b32 v206, v21 offset:17408                         // 0000000126D4: D86C4400 CE000015
	ds_read_b32 v207, v21 offset:17472                         // 0000000126DC: D86C4440 CF000015
	ds_read_b32 v210, v21 offset:19584                         // 0000000126E4: D86C4C80 D2000015
	ds_read_b32 v211, v21 offset:19648                         // 0000000126EC: D86C4CC0 D3000015
	ds_read_b32 v214, v21 offset:21760                         // 0000000126F4: D86C5500 D6000015
	ds_read_b32 v215, v21 offset:21824                         // 0000000126FC: D86C5540 D7000015
	ds_read_b32 v218, v21 offset:23936                         // 000000012704: D86C5D80 DA000015
	ds_read_b32 v219, v21 offset:24000                         // 00000001270C: D86C5DC0 DB000015
	ds_read_b32 v222, v21 offset:26112                         // 000000012714: D86C6600 DE000015
	ds_read_b32 v223, v21 offset:26176                         // 00000001271C: D86C6640 DF000015
	ds_read_b32 v226, v21 offset:28288                         // 000000012724: D86C6E80 E2000015
	ds_read_b32 v227, v21 offset:28352                         // 00000001272C: D86C6EC0 E3000015
	ds_read_b32 v230, v21 offset:30464                         // 000000012734: D86C7700 E6000015
	ds_read_b32 v231, v21 offset:30528                         // 00000001273C: D86C7740 E7000015
	ds_read_b32 v234, v21 offset:32640                         // 000000012744: D86C7F80 EA000015
	ds_read_b32 v235, v21 offset:32704                         // 00000001274C: D86C7FC0 EB000015
	ds_read_b32 v238, v21 offset:34816                         // 000000012754: D86C8800 EE000015
	ds_read_b32 v239, v21 offset:34880                         // 00000001275C: D86C8840 EF000015
	ds_read_b32 v242, v21 offset:36992                         // 000000012764: D86C9080 F2000015
	ds_read_b32 v243, v21 offset:37056                         // 00000001276C: D86C90C0 F3000015
	ds_read_b32 v246, v21 offset:39168                         // 000000012774: D86C9900 F6000015
	ds_read_b32 v247, v21 offset:39232                         // 00000001277C: D86C9940 F7000015
	ds_read_b32 v250, v21 offset:41344                         // 000000012784: D86CA180 FA000015
	ds_read_b32 v251, v21 offset:41408                         // 00000001278C: D86CA1C0 FB000015
	s_waitcnt lgkmcnt(0)                                       // 000000012794: BF8CC07F
	v_mov_b32_e32 v7, 0                                        // 000000012798: 7E0E0280
	s_mov_b64 exec, s[36:37]                                   // 00000001279C: BEFE0124
	v_mov_b32_e32 v6, v68                                      // 0000000127A0: 7E0C0344
	s_mov_b64 s[60:61], 0                                      // 0000000127A4: BEBC0180
	v_readlane_b32 s82, v3, 0                                  // 0000000127A8: D2890052 00010103
	s_and_b32 s82, s82, 0xffffff                               // 0000000127B0: 8652FF52 00FFFFFF
	s_cmp_lt_u32 s82, s66                                      // 0000000127B8: BF0A4252
	s_cselect_b32 s20, s36, s60                                // 0000000127BC: 85143C24
	v_readlane_b32 s82, v3, 1                                  // 0000000127C0: D2890052 00010303
	s_and_b32 s82, s82, 0xffffff                               // 0000000127C8: 8652FF52 00FFFFFF
	s_cmp_lt_u32 s82, s66                                      // 0000000127D0: BF0A4252
	s_cselect_b32 s21, s36, s60                                // 0000000127D4: 85153C24
	s_mov_b64 exec, s[20:21]                                   // 0000000127D8: BEFE0114
	global_atomic_add_f32 v6, v174, s[8:9] offset:8            // 0000000127DC: DD348008 0008AE06
	global_atomic_add_f32 v6, v178, s[8:9] offset:264          // 0000000127E4: DD348108 0008B206
	s_mov_b64 exec, s[36:37]                                   // 0000000127EC: BEFE0124
	v_mov_b32_e32 v6, v69                                      // 0000000127F0: 7E0C0345
	s_mov_b64 s[60:61], 0                                      // 0000000127F4: BEBC0180
	v_readlane_b32 s82, v3, 2                                  // 0000000127F8: D2890052 00010503
	s_and_b32 s82, s82, 0xffffff                               // 000000012800: 8652FF52 00FFFFFF
	s_cmp_lt_u32 s82, s66                                      // 000000012808: BF0A4252
	s_cselect_b32 s20, s36, s60                                // 00000001280C: 85143C24
	v_readlane_b32 s82, v3, 3                                  // 000000012810: D2890052 00010703
	s_and_b32 s82, s82, 0xffffff                               // 000000012818: 8652FF52 00FFFFFF
	s_cmp_lt_u32 s82, s66                                      // 000000012820: BF0A4252
	s_cselect_b32 s21, s36, s60                                // 000000012824: 85153C24
	s_mov_b64 exec, s[20:21]                                   // 000000012828: BEFE0114
	global_atomic_add_f32 v6, v175, s[8:9] offset:8            // 00000001282C: DD348008 0008AF06
	global_atomic_add_f32 v6, v179, s[8:9] offset:264          // 000000012834: DD348108 0008B306
	s_mov_b64 exec, s[36:37]                                   // 00000001283C: BEFE0124
	v_mov_b32_e32 v6, v70                                      // 000000012840: 7E0C0346
	s_mov_b64 s[60:61], 0                                      // 000000012844: BEBC0180
	v_readlane_b32 s82, v3, 4                                  // 000000012848: D2890052 00010903
	s_and_b32 s82, s82, 0xffffff                               // 000000012850: 8652FF52 00FFFFFF
	s_cmp_lt_u32 s82, s66                                      // 000000012858: BF0A4252
	s_cselect_b32 s20, s36, s60                                // 00000001285C: 85143C24
	v_readlane_b32 s82, v3, 5                                  // 000000012860: D2890052 00010B03
	s_and_b32 s82, s82, 0xffffff                               // 000000012868: 8652FF52 00FFFFFF
	s_cmp_lt_u32 s82, s66                                      // 000000012870: BF0A4252
	s_cselect_b32 s21, s36, s60                                // 000000012874: 85153C24
	s_mov_b64 exec, s[20:21]                                   // 000000012878: BEFE0114
	global_atomic_add_f32 v6, v182, s[8:9] offset:8            // 00000001287C: DD348008 0008B606
	global_atomic_add_f32 v6, v186, s[8:9] offset:264          // 000000012884: DD348108 0008BA06
	s_mov_b64 exec, s[36:37]                                   // 00000001288C: BEFE0124
	v_mov_b32_e32 v6, v71                                      // 000000012890: 7E0C0347
	s_mov_b64 s[60:61], 0                                      // 000000012894: BEBC0180
	v_readlane_b32 s82, v3, 6                                  // 000000012898: D2890052 00010D03
	s_and_b32 s82, s82, 0xffffff                               // 0000000128A0: 8652FF52 00FFFFFF
	s_cmp_lt_u32 s82, s66                                      // 0000000128A8: BF0A4252
	s_cselect_b32 s20, s36, s60                                // 0000000128AC: 85143C24
	v_readlane_b32 s82, v3, 7                                  // 0000000128B0: D2890052 00010F03
	s_and_b32 s82, s82, 0xffffff                               // 0000000128B8: 8652FF52 00FFFFFF
	s_cmp_lt_u32 s82, s66                                      // 0000000128C0: BF0A4252
	s_cselect_b32 s21, s36, s60                                // 0000000128C4: 85153C24
	s_mov_b64 exec, s[20:21]                                   // 0000000128C8: BEFE0114
	global_atomic_add_f32 v6, v183, s[8:9] offset:8            // 0000000128CC: DD348008 0008B706
	global_atomic_add_f32 v6, v187, s[8:9] offset:264          // 0000000128D4: DD348108 0008BB06
	s_mov_b64 exec, s[36:37]                                   // 0000000128DC: BEFE0124
	v_mov_b32_e32 v6, v72                                      // 0000000128E0: 7E0C0348
	s_mov_b64 s[60:61], 0                                      // 0000000128E4: BEBC0180
	v_readlane_b32 s82, v3, 8                                  // 0000000128E8: D2890052 00011103
	s_and_b32 s82, s82, 0xffffff                               // 0000000128F0: 8652FF52 00FFFFFF
	s_cmp_lt_u32 s82, s66                                      // 0000000128F8: BF0A4252
	s_cselect_b32 s20, s36, s60                                // 0000000128FC: 85143C24
	v_readlane_b32 s82, v3, 9                                  // 000000012900: D2890052 00011303
	s_and_b32 s82, s82, 0xffffff                               // 000000012908: 8652FF52 00FFFFFF
	s_cmp_lt_u32 s82, s66                                      // 000000012910: BF0A4252
	s_cselect_b32 s21, s36, s60                                // 000000012914: 85153C24
	s_mov_b64 exec, s[20:21]                                   // 000000012918: BEFE0114
	global_atomic_add_f32 v6, v190, s[8:9] offset:8            // 00000001291C: DD348008 0008BE06
	global_atomic_add_f32 v6, v194, s[8:9] offset:264          // 000000012924: DD348108 0008C206
	s_mov_b64 exec, s[36:37]                                   // 00000001292C: BEFE0124
	v_mov_b32_e32 v6, v73                                      // 000000012930: 7E0C0349
	s_mov_b64 s[60:61], 0                                      // 000000012934: BEBC0180
	v_readlane_b32 s82, v3, 10                                 // 000000012938: D2890052 00011503
	s_and_b32 s82, s82, 0xffffff                               // 000000012940: 8652FF52 00FFFFFF
	s_cmp_lt_u32 s82, s66                                      // 000000012948: BF0A4252
	s_cselect_b32 s20, s36, s60                                // 00000001294C: 85143C24
	v_readlane_b32 s82, v3, 11                                 // 000000012950: D2890052 00011703
	s_and_b32 s82, s82, 0xffffff                               // 000000012958: 8652FF52 00FFFFFF
	s_cmp_lt_u32 s82, s66                                      // 000000012960: BF0A4252
	s_cselect_b32 s21, s36, s60                                // 000000012964: 85153C24
	s_mov_b64 exec, s[20:21]                                   // 000000012968: BEFE0114
	global_atomic_add_f32 v6, v191, s[8:9] offset:8            // 00000001296C: DD348008 0008BF06
	global_atomic_add_f32 v6, v195, s[8:9] offset:264          // 000000012974: DD348108 0008C306
	s_mov_b64 exec, s[36:37]                                   // 00000001297C: BEFE0124
	v_mov_b32_e32 v6, v74                                      // 000000012980: 7E0C034A
	s_mov_b64 s[60:61], 0                                      // 000000012984: BEBC0180
	v_readlane_b32 s82, v3, 12                                 // 000000012988: D2890052 00011903
	s_and_b32 s82, s82, 0xffffff                               // 000000012990: 8652FF52 00FFFFFF
	s_cmp_lt_u32 s82, s66                                      // 000000012998: BF0A4252
	s_cselect_b32 s20, s36, s60                                // 00000001299C: 85143C24
	v_readlane_b32 s82, v3, 13                                 // 0000000129A0: D2890052 00011B03
	s_and_b32 s82, s82, 0xffffff                               // 0000000129A8: 8652FF52 00FFFFFF
	s_cmp_lt_u32 s82, s66                                      // 0000000129B0: BF0A4252
	s_cselect_b32 s21, s36, s60                                // 0000000129B4: 85153C24
	s_mov_b64 exec, s[20:21]                                   // 0000000129B8: BEFE0114
	global_atomic_add_f32 v6, v198, s[8:9] offset:8            // 0000000129BC: DD348008 0008C606
	global_atomic_add_f32 v6, v202, s[8:9] offset:264          // 0000000129C4: DD348108 0008CA06
	s_mov_b64 exec, s[36:37]                                   // 0000000129CC: BEFE0124
	v_mov_b32_e32 v6, v75                                      // 0000000129D0: 7E0C034B
	s_mov_b64 s[60:61], 0                                      // 0000000129D4: BEBC0180
	v_readlane_b32 s82, v3, 14                                 // 0000000129D8: D2890052 00011D03
	s_and_b32 s82, s82, 0xffffff                               // 0000000129E0: 8652FF52 00FFFFFF
	s_cmp_lt_u32 s82, s66                                      // 0000000129E8: BF0A4252
	s_cselect_b32 s20, s36, s60                                // 0000000129EC: 85143C24
	v_readlane_b32 s82, v3, 15                                 // 0000000129F0: D2890052 00011F03
	s_and_b32 s82, s82, 0xffffff                               // 0000000129F8: 8652FF52 00FFFFFF
	s_cmp_lt_u32 s82, s66                                      // 000000012A00: BF0A4252
	s_cselect_b32 s21, s36, s60                                // 000000012A04: 85153C24
	s_mov_b64 exec, s[20:21]                                   // 000000012A08: BEFE0114
	global_atomic_add_f32 v6, v199, s[8:9] offset:8            // 000000012A0C: DD348008 0008C706
	global_atomic_add_f32 v6, v203, s[8:9] offset:264          // 000000012A14: DD348108 0008CB06
	s_mov_b64 exec, s[36:37]                                   // 000000012A1C: BEFE0124
	v_mov_b32_e32 v6, v76                                      // 000000012A20: 7E0C034C
	s_mov_b64 s[60:61], 0                                      // 000000012A24: BEBC0180
	v_readlane_b32 s82, v3, 16                                 // 000000012A28: D2890052 00012103
	s_and_b32 s82, s82, 0xffffff                               // 000000012A30: 8652FF52 00FFFFFF
	s_cmp_lt_u32 s82, s66                                      // 000000012A38: BF0A4252
	s_cselect_b32 s20, s36, s60                                // 000000012A3C: 85143C24
	v_readlane_b32 s82, v3, 17                                 // 000000012A40: D2890052 00012303
	s_and_b32 s82, s82, 0xffffff                               // 000000012A48: 8652FF52 00FFFFFF
	s_cmp_lt_u32 s82, s66                                      // 000000012A50: BF0A4252
	s_cselect_b32 s21, s36, s60                                // 000000012A54: 85153C24
	s_mov_b64 exec, s[20:21]                                   // 000000012A58: BEFE0114
	global_atomic_add_f32 v6, v206, s[8:9] offset:8            // 000000012A5C: DD348008 0008CE06
	global_atomic_add_f32 v6, v210, s[8:9] offset:264          // 000000012A64: DD348108 0008D206
	s_mov_b64 exec, s[36:37]                                   // 000000012A6C: BEFE0124
	v_mov_b32_e32 v6, v77                                      // 000000012A70: 7E0C034D
	s_mov_b64 s[60:61], 0                                      // 000000012A74: BEBC0180
	v_readlane_b32 s82, v3, 18                                 // 000000012A78: D2890052 00012503
	s_and_b32 s82, s82, 0xffffff                               // 000000012A80: 8652FF52 00FFFFFF
	s_cmp_lt_u32 s82, s66                                      // 000000012A88: BF0A4252
	s_cselect_b32 s20, s36, s60                                // 000000012A8C: 85143C24
	v_readlane_b32 s82, v3, 19                                 // 000000012A90: D2890052 00012703
	s_and_b32 s82, s82, 0xffffff                               // 000000012A98: 8652FF52 00FFFFFF
	s_cmp_lt_u32 s82, s66                                      // 000000012AA0: BF0A4252
	s_cselect_b32 s21, s36, s60                                // 000000012AA4: 85153C24
	s_mov_b64 exec, s[20:21]                                   // 000000012AA8: BEFE0114
	global_atomic_add_f32 v6, v207, s[8:9] offset:8            // 000000012AAC: DD348008 0008CF06
	global_atomic_add_f32 v6, v211, s[8:9] offset:264          // 000000012AB4: DD348108 0008D306
	s_mov_b64 exec, s[36:37]                                   // 000000012ABC: BEFE0124
	v_mov_b32_e32 v6, v78                                      // 000000012AC0: 7E0C034E
	s_mov_b64 s[60:61], 0                                      // 000000012AC4: BEBC0180
	v_readlane_b32 s82, v3, 20                                 // 000000012AC8: D2890052 00012903
	s_and_b32 s82, s82, 0xffffff                               // 000000012AD0: 8652FF52 00FFFFFF
	s_cmp_lt_u32 s82, s66                                      // 000000012AD8: BF0A4252
	s_cselect_b32 s20, s36, s60                                // 000000012ADC: 85143C24
	v_readlane_b32 s82, v3, 21                                 // 000000012AE0: D2890052 00012B03
	s_and_b32 s82, s82, 0xffffff                               // 000000012AE8: 8652FF52 00FFFFFF
	s_cmp_lt_u32 s82, s66                                      // 000000012AF0: BF0A4252
	s_cselect_b32 s21, s36, s60                                // 000000012AF4: 85153C24
	s_mov_b64 exec, s[20:21]                                   // 000000012AF8: BEFE0114
	global_atomic_add_f32 v6, v214, s[8:9] offset:8            // 000000012AFC: DD348008 0008D606
	global_atomic_add_f32 v6, v218, s[8:9] offset:264          // 000000012B04: DD348108 0008DA06
	s_mov_b64 exec, s[36:37]                                   // 000000012B0C: BEFE0124
	v_mov_b32_e32 v6, v79                                      // 000000012B10: 7E0C034F
	s_mov_b64 s[60:61], 0                                      // 000000012B14: BEBC0180
	v_readlane_b32 s82, v3, 22                                 // 000000012B18: D2890052 00012D03
	s_and_b32 s82, s82, 0xffffff                               // 000000012B20: 8652FF52 00FFFFFF
	s_cmp_lt_u32 s82, s66                                      // 000000012B28: BF0A4252
	s_cselect_b32 s20, s36, s60                                // 000000012B2C: 85143C24
	v_readlane_b32 s82, v3, 23                                 // 000000012B30: D2890052 00012F03
	s_and_b32 s82, s82, 0xffffff                               // 000000012B38: 8652FF52 00FFFFFF
	s_cmp_lt_u32 s82, s66                                      // 000000012B40: BF0A4252
	s_cselect_b32 s21, s36, s60                                // 000000012B44: 85153C24
	s_mov_b64 exec, s[20:21]                                   // 000000012B48: BEFE0114
	global_atomic_add_f32 v6, v215, s[8:9] offset:8            // 000000012B4C: DD348008 0008D706
	global_atomic_add_f32 v6, v219, s[8:9] offset:264          // 000000012B54: DD348108 0008DB06
	s_mov_b64 exec, s[36:37]                                   // 000000012B5C: BEFE0124
	v_mov_b32_e32 v6, v80                                      // 000000012B60: 7E0C0350
	s_mov_b64 s[60:61], 0                                      // 000000012B64: BEBC0180
	v_readlane_b32 s82, v3, 24                                 // 000000012B68: D2890052 00013103
	s_and_b32 s82, s82, 0xffffff                               // 000000012B70: 8652FF52 00FFFFFF
	s_cmp_lt_u32 s82, s66                                      // 000000012B78: BF0A4252
	s_cselect_b32 s20, s36, s60                                // 000000012B7C: 85143C24
	v_readlane_b32 s82, v3, 25                                 // 000000012B80: D2890052 00013303
	s_and_b32 s82, s82, 0xffffff                               // 000000012B88: 8652FF52 00FFFFFF
	s_cmp_lt_u32 s82, s66                                      // 000000012B90: BF0A4252
	s_cselect_b32 s21, s36, s60                                // 000000012B94: 85153C24
	s_mov_b64 exec, s[20:21]                                   // 000000012B98: BEFE0114
	global_atomic_add_f32 v6, v222, s[8:9] offset:8            // 000000012B9C: DD348008 0008DE06
	global_atomic_add_f32 v6, v226, s[8:9] offset:264          // 000000012BA4: DD348108 0008E206
	s_mov_b64 exec, s[36:37]                                   // 000000012BAC: BEFE0124
	v_mov_b32_e32 v6, v81                                      // 000000012BB0: 7E0C0351
	s_mov_b64 s[60:61], 0                                      // 000000012BB4: BEBC0180
	v_readlane_b32 s82, v3, 26                                 // 000000012BB8: D2890052 00013503
	s_and_b32 s82, s82, 0xffffff                               // 000000012BC0: 8652FF52 00FFFFFF
	s_cmp_lt_u32 s82, s66                                      // 000000012BC8: BF0A4252
	s_cselect_b32 s20, s36, s60                                // 000000012BCC: 85143C24
	v_readlane_b32 s82, v3, 27                                 // 000000012BD0: D2890052 00013703
	s_and_b32 s82, s82, 0xffffff                               // 000000012BD8: 8652FF52 00FFFFFF
	s_cmp_lt_u32 s82, s66                                      // 000000012BE0: BF0A4252
	s_cselect_b32 s21, s36, s60                                // 000000012BE4: 85153C24
	s_mov_b64 exec, s[20:21]                                   // 000000012BE8: BEFE0114
	global_atomic_add_f32 v6, v223, s[8:9] offset:8            // 000000012BEC: DD348008 0008DF06
	global_atomic_add_f32 v6, v227, s[8:9] offset:264          // 000000012BF4: DD348108 0008E306
	s_mov_b64 exec, s[36:37]                                   // 000000012BFC: BEFE0124
	v_mov_b32_e32 v6, v82                                      // 000000012C00: 7E0C0352
	s_mov_b64 s[60:61], 0                                      // 000000012C04: BEBC0180
	v_readlane_b32 s82, v3, 28                                 // 000000012C08: D2890052 00013903
	s_and_b32 s82, s82, 0xffffff                               // 000000012C10: 8652FF52 00FFFFFF
	s_cmp_lt_u32 s82, s66                                      // 000000012C18: BF0A4252
	s_cselect_b32 s20, s36, s60                                // 000000012C1C: 85143C24
	v_readlane_b32 s82, v3, 29                                 // 000000012C20: D2890052 00013B03
	s_and_b32 s82, s82, 0xffffff                               // 000000012C28: 8652FF52 00FFFFFF
	s_cmp_lt_u32 s82, s66                                      // 000000012C30: BF0A4252
	s_cselect_b32 s21, s36, s60                                // 000000012C34: 85153C24
	s_mov_b64 exec, s[20:21]                                   // 000000012C38: BEFE0114
	global_atomic_add_f32 v6, v230, s[8:9] offset:8            // 000000012C3C: DD348008 0008E606
	global_atomic_add_f32 v6, v234, s[8:9] offset:264          // 000000012C44: DD348108 0008EA06
	s_mov_b64 exec, s[36:37]                                   // 000000012C4C: BEFE0124
	v_mov_b32_e32 v6, v83                                      // 000000012C50: 7E0C0353
	s_mov_b64 s[60:61], 0                                      // 000000012C54: BEBC0180
	v_readlane_b32 s82, v3, 30                                 // 000000012C58: D2890052 00013D03
	s_and_b32 s82, s82, 0xffffff                               // 000000012C60: 8652FF52 00FFFFFF
	s_cmp_lt_u32 s82, s66                                      // 000000012C68: BF0A4252
	s_cselect_b32 s20, s36, s60                                // 000000012C6C: 85143C24
	v_readlane_b32 s82, v3, 31                                 // 000000012C70: D2890052 00013F03
	s_and_b32 s82, s82, 0xffffff                               // 000000012C78: 8652FF52 00FFFFFF
	s_cmp_lt_u32 s82, s66                                      // 000000012C80: BF0A4252
	s_cselect_b32 s21, s36, s60                                // 000000012C84: 85153C24
	s_mov_b64 exec, s[20:21]                                   // 000000012C88: BEFE0114
	global_atomic_add_f32 v6, v231, s[8:9] offset:8            // 000000012C8C: DD348008 0008E706
	global_atomic_add_f32 v6, v235, s[8:9] offset:264          // 000000012C94: DD348108 0008EB06
	s_mov_b64 exec, s[36:37]                                   // 000000012C9C: BEFE0124
	v_mov_b32_e32 v6, v84                                      // 000000012CA0: 7E0C0354
	s_mov_b64 s[60:61], 0                                      // 000000012CA4: BEBC0180
	v_readlane_b32 s82, v3, 32                                 // 000000012CA8: D2890052 00014103
	s_and_b32 s82, s82, 0xffffff                               // 000000012CB0: 8652FF52 00FFFFFF
	s_cmp_lt_u32 s82, s66                                      // 000000012CB8: BF0A4252
	s_cselect_b32 s20, s36, s60                                // 000000012CBC: 85143C24
	v_readlane_b32 s82, v3, 33                                 // 000000012CC0: D2890052 00014303
	s_and_b32 s82, s82, 0xffffff                               // 000000012CC8: 8652FF52 00FFFFFF
	s_cmp_lt_u32 s82, s66                                      // 000000012CD0: BF0A4252
	s_cselect_b32 s21, s36, s60                                // 000000012CD4: 85153C24
	s_mov_b64 exec, s[20:21]                                   // 000000012CD8: BEFE0114
	global_atomic_add_f32 v6, v238, s[8:9] offset:8            // 000000012CDC: DD348008 0008EE06
	global_atomic_add_f32 v6, v242, s[8:9] offset:264          // 000000012CE4: DD348108 0008F206
	s_mov_b64 exec, s[36:37]                                   // 000000012CEC: BEFE0124
	v_mov_b32_e32 v6, v85                                      // 000000012CF0: 7E0C0355
	s_mov_b64 s[60:61], 0                                      // 000000012CF4: BEBC0180
	v_readlane_b32 s82, v3, 34                                 // 000000012CF8: D2890052 00014503
	s_and_b32 s82, s82, 0xffffff                               // 000000012D00: 8652FF52 00FFFFFF
	s_cmp_lt_u32 s82, s66                                      // 000000012D08: BF0A4252
	s_cselect_b32 s20, s36, s60                                // 000000012D0C: 85143C24
	v_readlane_b32 s82, v3, 35                                 // 000000012D10: D2890052 00014703
	s_and_b32 s82, s82, 0xffffff                               // 000000012D18: 8652FF52 00FFFFFF
	s_cmp_lt_u32 s82, s66                                      // 000000012D20: BF0A4252
	s_cselect_b32 s21, s36, s60                                // 000000012D24: 85153C24
	s_mov_b64 exec, s[20:21]                                   // 000000012D28: BEFE0114
	global_atomic_add_f32 v6, v239, s[8:9] offset:8            // 000000012D2C: DD348008 0008EF06
	global_atomic_add_f32 v6, v243, s[8:9] offset:264          // 000000012D34: DD348108 0008F306
	s_mov_b64 exec, s[36:37]                                   // 000000012D3C: BEFE0124
	v_mov_b32_e32 v6, v86                                      // 000000012D40: 7E0C0356
	s_mov_b64 s[60:61], 0                                      // 000000012D44: BEBC0180
	v_readlane_b32 s82, v3, 36                                 // 000000012D48: D2890052 00014903
	s_and_b32 s82, s82, 0xffffff                               // 000000012D50: 8652FF52 00FFFFFF
	s_cmp_lt_u32 s82, s66                                      // 000000012D58: BF0A4252
	s_cselect_b32 s20, s36, s60                                // 000000012D5C: 85143C24
	v_readlane_b32 s82, v3, 37                                 // 000000012D60: D2890052 00014B03
	s_and_b32 s82, s82, 0xffffff                               // 000000012D68: 8652FF52 00FFFFFF
	s_cmp_lt_u32 s82, s66                                      // 000000012D70: BF0A4252
	s_cselect_b32 s21, s36, s60                                // 000000012D74: 85153C24
	s_mov_b64 exec, s[20:21]                                   // 000000012D78: BEFE0114
	global_atomic_add_f32 v6, v246, s[8:9] offset:8            // 000000012D7C: DD348008 0008F606
	global_atomic_add_f32 v6, v250, s[8:9] offset:264          // 000000012D84: DD348108 0008FA06
	s_mov_b64 exec, s[36:37]                                   // 000000012D8C: BEFE0124
	v_mov_b32_e32 v6, v87                                      // 000000012D90: 7E0C0357
	s_mov_b64 s[60:61], 0                                      // 000000012D94: BEBC0180
	v_readlane_b32 s82, v3, 38                                 // 000000012D98: D2890052 00014D03
	s_and_b32 s82, s82, 0xffffff                               // 000000012DA0: 8652FF52 00FFFFFF
	s_cmp_lt_u32 s82, s66                                      // 000000012DA8: BF0A4252
	s_cselect_b32 s20, s36, s60                                // 000000012DAC: 85143C24
	v_readlane_b32 s82, v3, 39                                 // 000000012DB0: D2890052 00014F03
	s_and_b32 s82, s82, 0xffffff                               // 000000012DB8: 8652FF52 00FFFFFF
	s_cmp_lt_u32 s82, s66                                      // 000000012DC0: BF0A4252
	s_cselect_b32 s21, s36, s60                                // 000000012DC4: 85153C24
	s_mov_b64 exec, s[20:21]                                   // 000000012DC8: BEFE0114
	global_atomic_add_f32 v6, v247, s[8:9] offset:8            // 000000012DCC: DD348008 0008F706
	global_atomic_add_f32 v6, v251, s[8:9] offset:264          // 000000012DD4: DD348108 0008FB06
	s_mov_b64 exec, s[36:37]                                   // 000000012DDC: BEFE0124
	s_branch label_40FC                                        // 000000012DE0: BF820000

0000000000012de4 <label_40FC>:
	s_waitcnt vmcnt(0) expcnt(0) lgkmcnt(0)                    // 000000012DE4: BF8C0000
	s_endpgm                                                   // 000000012DE8: BF810000
